;; amdgpu-corpus repo=ROCm/rocFFT kind=compiled arch=gfx1030 opt=O3
	.text
	.amdgcn_target "amdgcn-amd-amdhsa--gfx1030"
	.amdhsa_code_object_version 6
	.protected	bluestein_single_fwd_len5488_dim1_half_op_CI_CI ; -- Begin function bluestein_single_fwd_len5488_dim1_half_op_CI_CI
	.globl	bluestein_single_fwd_len5488_dim1_half_op_CI_CI
	.p2align	8
	.type	bluestein_single_fwd_len5488_dim1_half_op_CI_CI,@function
bluestein_single_fwd_len5488_dim1_half_op_CI_CI: ; @bluestein_single_fwd_len5488_dim1_half_op_CI_CI
; %bb.0:
	s_load_dwordx4 s[12:15], s[4:5], 0x28
	v_mul_u32_u24_e32 v1, 0x14f, v0
	v_mov_b32_e32 v72, 0
	s_mov_b32 s0, exec_lo
	v_lshrrev_b32_e32 v1, 16, v1
	v_add_nc_u32_e32 v71, s6, v1
	s_waitcnt lgkmcnt(0)
	v_cmpx_gt_u64_e64 s[12:13], v[71:72]
	s_cbranch_execz .LBB0_2
; %bb.1:
	s_clause 0x1
	s_load_dwordx4 s[8:11], s[4:5], 0x18
	s_load_dwordx4 s[0:3], s[4:5], 0x0
	v_mul_lo_u16 v1, 0xc4, v1
	s_load_dwordx2 s[4:5], s[4:5], 0x38
	v_sub_nc_u16 v0, v0, v1
	v_and_b32_e32 v121, 0xffff, v0
	v_lshlrev_b32_e32 v124, 2, v121
	s_waitcnt lgkmcnt(0)
	s_load_dwordx4 s[16:19], s[8:9], 0x0
	s_clause 0x2
	global_load_dword v126, v124, s[0:1]
	global_load_dword v116, v124, s[0:1] offset:784
	global_load_dword v102, v124, s[0:1] offset:1568
	v_add_co_u32 v139, s6, s0, v124
	v_add_co_ci_u32_e64 v140, null, s1, 0, s6
	v_add_nc_u32_e32 v136, 0xf00, v124
	v_add_co_u32 v23, vcc_lo, 0x800, v139
	v_add_co_ci_u32_e32 v24, vcc_lo, 0, v140, vcc_lo
	v_add_co_u32 v20, vcc_lo, 0x1800, v139
	v_add_co_ci_u32_e32 v21, vcc_lo, 0, v140, vcc_lo
	v_add_co_u32 v25, vcc_lo, 0x2000, v139
	v_add_co_ci_u32_e32 v26, vcc_lo, 0, v140, vcc_lo
	s_waitcnt lgkmcnt(0)
	v_mad_u64_u32 v[1:2], null, s18, v71, 0
	v_mad_u64_u32 v[3:4], null, s16, v121, 0
	v_add_co_u32 v27, vcc_lo, 0x3000, v139
	v_add_co_ci_u32_e32 v28, vcc_lo, 0, v140, vcc_lo
	v_add_co_u32 v29, vcc_lo, 0x3800, v139
	v_mad_u64_u32 v[5:6], null, s19, v71, v[2:3]
	v_mov_b32_e32 v2, v4
	v_add_co_ci_u32_e32 v30, vcc_lo, 0, v140, vcc_lo
	v_add_co_u32 v31, vcc_lo, 0x4800, v139
	v_mad_u64_u32 v[6:7], null, s17, v121, v[2:3]
	v_mov_b32_e32 v2, v5
	v_add_co_ci_u32_e32 v32, vcc_lo, 0, v140, vcc_lo
	v_add_co_u32 v33, vcc_lo, 0x4000, v139
	v_lshlrev_b64 v[1:2], 2, v[1:2]
	v_mov_b32_e32 v4, v6
	v_add_co_ci_u32_e32 v34, vcc_lo, 0, v140, vcc_lo
	s_mul_i32 s1, s17, 0xc40
	s_mul_hi_u32 s6, s16, 0xc40
	v_lshlrev_b64 v[3:4], 2, v[3:4]
	v_add_co_u32 v1, vcc_lo, s14, v1
	v_add_co_ci_u32_e32 v2, vcc_lo, s15, v2, vcc_lo
	s_mul_i32 s0, s16, 0xc40
	v_add_co_u32 v1, vcc_lo, v1, v3
	v_add_co_ci_u32_e32 v2, vcc_lo, v2, v4, vcc_lo
	s_add_i32 s1, s6, s1
	v_add_co_u32 v3, vcc_lo, v1, s0
	v_add_co_ci_u32_e32 v4, vcc_lo, s1, v2, vcc_lo
	s_clause 0x1
	global_load_dword v127, v[23:24], off offset:1088
	global_load_dword v123, v[20:21], off offset:128
	global_load_dword v19, v[1:2], off
	global_load_dword v122, v[25:26], off offset:1216
	global_load_dword v18, v[3:4], off
	v_add_co_u32 v1, vcc_lo, v3, s0
	v_add_co_ci_u32_e32 v2, vcc_lo, s1, v4, vcc_lo
	s_mul_hi_u32 s7, s16, 0xffffb990
	v_add_co_u32 v3, vcc_lo, v1, s0
	v_add_co_ci_u32_e32 v4, vcc_lo, s1, v2, vcc_lo
	s_clause 0x1
	global_load_dword v120, v[27:28], off offset:256
	global_load_dword v119, v[29:30], off offset:1344
	global_load_dword v17, v[1:2], off
	global_load_dword v118, v[31:32], off offset:384
	global_load_dword v12, v[3:4], off
	v_add_co_u32 v1, vcc_lo, v3, s0
	v_add_co_ci_u32_e32 v2, vcc_lo, s1, v4, vcc_lo
	s_mul_i32 s6, s17, 0xffffb990
	v_add_co_u32 v3, vcc_lo, v1, s0
	v_add_co_ci_u32_e32 v4, vcc_lo, s1, v2, vcc_lo
	global_load_dword v13, v[1:2], off
	v_add_co_u32 v1, vcc_lo, v3, s0
	v_add_co_ci_u32_e32 v2, vcc_lo, s1, v4, vcc_lo
	s_mul_i32 s8, s16, 0xffffb990
	s_sub_i32 s7, s7, s16
	global_load_dword v8, v[3:4], off
	s_add_i32 s7, s7, s6
	v_add_co_u32 v3, vcc_lo, v1, s8
	v_add_co_ci_u32_e32 v4, vcc_lo, s7, v2, vcc_lo
	v_add_co_u32 v35, vcc_lo, 0x1000, v139
	v_add_co_ci_u32_e32 v36, vcc_lo, 0, v140, vcc_lo
	global_load_dword v5, v[1:2], off
	v_add_co_u32 v1, vcc_lo, v3, s0
	v_add_co_ci_u32_e32 v2, vcc_lo, s1, v4, vcc_lo
	global_load_dword v6, v[3:4], off
	v_add_co_u32 v10, vcc_lo, v1, s0
	v_add_co_ci_u32_e32 v11, vcc_lo, s1, v2, vcc_lo
	global_load_dword v117, v[23:24], off offset:1872
	global_load_dword v4, v[1:2], off
	s_clause 0x2
	global_load_dword v115, v[20:21], off offset:912
	global_load_dword v113, v[25:26], off offset:2000
	;; [unrolled: 1-line block ×3, first 2 shown]
	global_load_dword v9, v[10:11], off
	v_add_co_u32 v1, vcc_lo, v10, s0
	v_add_co_ci_u32_e32 v2, vcc_lo, s1, v11, vcc_lo
	global_load_dword v108, v[33:34], off offset:80
	v_add_co_u32 v10, vcc_lo, v1, s0
	v_add_co_ci_u32_e32 v11, vcc_lo, s1, v2, vcc_lo
	global_load_dword v14, v[1:2], off
	global_load_dword v106, v[31:32], off offset:1168
	v_add_co_u32 v1, vcc_lo, v10, s0
	v_add_co_ci_u32_e32 v2, vcc_lo, s1, v11, vcc_lo
	global_load_dword v15, v[10:11], off
	v_add_co_u32 v37, vcc_lo, v1, s0
	v_add_co_ci_u32_e32 v38, vcc_lo, s1, v2, vcc_lo
	global_load_dword v11, v[1:2], off
	;; [unrolled: 3-line block ×3, first 2 shown]
	v_add_co_u32 v37, vcc_lo, v1, s0
	v_add_co_ci_u32_e32 v38, vcc_lo, s1, v2, vcc_lo
	v_add_co_u32 v39, vcc_lo, 0x2800, v139
	v_add_co_ci_u32_e32 v40, vcc_lo, 0, v140, vcc_lo
	global_load_dword v3, v[1:2], off
	v_add_co_u32 v41, vcc_lo, v37, s0
	v_add_co_ci_u32_e32 v42, vcc_lo, s1, v38, vcc_lo
	global_load_dword v2, v[37:38], off
	global_load_dword v103, v[35:36], off offset:608
	v_add_co_u32 v37, vcc_lo, v41, s0
	v_add_co_ci_u32_e32 v38, vcc_lo, s1, v42, vcc_lo
	global_load_dword v1, v[41:42], off
	global_load_dword v101, v[20:21], off offset:1696
	v_add_co_u32 v21, vcc_lo, v37, s0
	v_add_co_ci_u32_e32 v22, vcc_lo, s1, v38, vcc_lo
	global_load_dword v16, v[37:38], off
	s_clause 0x1
	global_load_dword v100, v[39:40], off offset:736
	global_load_dword v99, v[27:28], off offset:1824
	global_load_dword v20, v[21:22], off
	v_add_co_u32 v21, vcc_lo, v21, s0
	v_add_co_ci_u32_e32 v22, vcc_lo, s1, v22, vcc_lo
	v_mov_b32_e32 v10, 2
	v_add_co_u32 v27, vcc_lo, v21, s0
	v_add_co_ci_u32_e32 v28, vcc_lo, s1, v22, vcc_lo
	global_load_dword v21, v[21:22], off
	s_clause 0x1
	global_load_dword v98, v[33:34], off offset:864
	global_load_dword v97, v[31:32], off offset:1952
	global_load_dword v22, v[27:28], off
	v_add_co_u32 v27, vcc_lo, v27, s8
	v_add_co_ci_u32_e32 v28, vcc_lo, s7, v28, vcc_lo
	global_load_dword v96, v[23:24], off offset:304
	v_add_co_u32 v31, vcc_lo, v27, s0
	v_add_co_ci_u32_e32 v32, vcc_lo, s1, v28, vcc_lo
	global_load_dword v23, v[27:28], off
	s_clause 0x2
	global_load_dword v95, v[35:36], off offset:1392
	global_load_dword v94, v[25:26], off offset:432
	global_load_dword v93, v[39:40], off offset:1520
	global_load_dword v27, v[31:32], off
	v_add_co_u32 v24, vcc_lo, v31, s0
	v_add_co_ci_u32_e32 v25, vcc_lo, s1, v32, vcc_lo
	global_load_dword v92, v[29:30], off offset:560
	v_add_co_u32 v28, vcc_lo, v24, s0
	v_add_co_ci_u32_e32 v29, vcc_lo, s1, v25, vcc_lo
	global_load_dword v26, v[24:25], off
	v_add_co_u32 v30, vcc_lo, v28, s0
	v_add_co_ci_u32_e32 v31, vcc_lo, s1, v29, vcc_lo
	global_load_dword v25, v[28:29], off
	;; [unrolled: 3-line block ×3, first 2 shown]
	v_add_co_u32 v30, vcc_lo, v28, s0
	v_add_co_ci_u32_e32 v31, vcc_lo, s1, v29, vcc_lo
	v_add_co_u32 v76, vcc_lo, 0x5000, v139
	global_load_dword v28, v[28:29], off
	v_add_co_ci_u32_e32 v77, vcc_lo, 0, v140, vcc_lo
	global_load_dword v29, v[30:31], off
	s_clause 0x1
	global_load_dword v91, v[33:34], off offset:1648
	global_load_dword v90, v[76:77], off offset:688
	v_mul_lo_u16 v30, v0, 7
	v_add_nc_u32_e32 v137, 0x1b00, v124
	v_add_nc_u32_e32 v138, 0x2700, v124
	;; [unrolled: 1-line block ×4, first 2 shown]
	v_lshlrev_b32_sdwa v141, v10, v30 dst_sel:DWORD dst_unused:UNUSED_PAD src0_sel:DWORD src1_sel:WORD_0
	v_add_nc_u32_e32 v135, 0x4c00, v124
	v_add_nc_u32_e32 v114, 0x600, v124
	;; [unrolled: 1-line block ×6, first 2 shown]
	s_load_dwordx4 s[8:11], s[10:11], 0x0
	v_add_nc_u32_e32 v130, 0x2400, v124
	v_add_nc_u32_e32 v129, 0x3100, v124
	;; [unrolled: 1-line block ×8, first 2 shown]
	s_waitcnt lgkmcnt(0)
	s_mul_i32 s7, s8, 0xffffb990
	s_waitcnt vmcnt(50)
	v_lshrrev_b32_e32 v30, 16, v19
	v_mul_f16_sdwa v31, v126, v19 dst_sel:DWORD dst_unused:UNUSED_PAD src0_sel:WORD_1 src1_sel:DWORD
	s_waitcnt vmcnt(48)
	v_lshrrev_b32_e32 v33, 16, v18
	v_mul_f16_sdwa v34, v127, v18 dst_sel:DWORD dst_unused:UNUSED_PAD src0_sel:WORD_1 src1_sel:DWORD
	v_mul_f16_sdwa v32, v126, v30 dst_sel:DWORD dst_unused:UNUSED_PAD src0_sel:WORD_1 src1_sel:DWORD
	v_fma_f16 v30, v126, v30, -v31
	v_fmac_f16_e32 v32, v126, v19
	v_mul_f16_sdwa v19, v127, v33 dst_sel:DWORD dst_unused:UNUSED_PAD src0_sel:WORD_1 src1_sel:DWORD
	s_waitcnt vmcnt(45)
	v_lshrrev_b32_e32 v31, 16, v17
	v_fma_f16 v33, v127, v33, -v34
	v_mul_f16_sdwa v34, v123, v17 dst_sel:DWORD dst_unused:UNUSED_PAD src0_sel:WORD_1 src1_sel:DWORD
	v_pack_b32_f16 v30, v32, v30
	v_fmac_f16_e32 v19, v127, v18
	v_mul_f16_sdwa v18, v123, v31 dst_sel:DWORD dst_unused:UNUSED_PAD src0_sel:WORD_1 src1_sel:DWORD
	s_waitcnt vmcnt(43)
	v_lshrrev_b32_e32 v32, 16, v12
	v_fma_f16 v31, v123, v31, -v34
	v_mul_f16_sdwa v35, v122, v12 dst_sel:DWORD dst_unused:UNUSED_PAD src0_sel:WORD_1 src1_sel:DWORD
	v_pack_b32_f16 v19, v19, v33
	v_fmac_f16_e32 v18, v123, v17
	v_mul_f16_sdwa v17, v122, v32 dst_sel:DWORD dst_unused:UNUSED_PAD src0_sel:WORD_1 src1_sel:DWORD
	s_waitcnt vmcnt(42)
	v_lshrrev_b32_e32 v33, 16, v13
	v_mul_f16_sdwa v34, v120, v13 dst_sel:DWORD dst_unused:UNUSED_PAD src0_sel:WORD_1 src1_sel:DWORD
	ds_write_b32 v124, v19 offset:3136
	v_pack_b32_f16 v18, v18, v31
	v_fmac_f16_e32 v17, v122, v12
	v_mul_f16_sdwa v12, v120, v33 dst_sel:DWORD dst_unused:UNUSED_PAD src0_sel:WORD_1 src1_sel:DWORD
	v_fma_f16 v19, v120, v33, -v34
	s_waitcnt vmcnt(41)
	v_lshrrev_b32_e32 v31, 16, v8
	v_mul_f16_sdwa v33, v119, v8 dst_sel:DWORD dst_unused:UNUSED_PAD src0_sel:WORD_1 src1_sel:DWORD
	v_fma_f16 v32, v122, v32, -v35
	ds_write_b32 v124, v18 offset:6272
	v_fmac_f16_e32 v12, v120, v13
	v_mul_f16_sdwa v13, v119, v31 dst_sel:DWORD dst_unused:UNUSED_PAD src0_sel:WORD_1 src1_sel:DWORD
	v_fma_f16 v18, v119, v31, -v33
	v_pack_b32_f16 v17, v17, v32
	s_waitcnt vmcnt(40)
	v_lshrrev_b32_e32 v31, 16, v5
	v_mul_f16_sdwa v32, v118, v5 dst_sel:DWORD dst_unused:UNUSED_PAD src0_sel:WORD_1 src1_sel:DWORD
	v_pack_b32_f16 v12, v12, v19
	v_fmac_f16_e32 v13, v119, v8
	ds_write_b32 v124, v17 offset:9408
	v_mul_f16_sdwa v8, v118, v31 dst_sel:DWORD dst_unused:UNUSED_PAD src0_sel:WORD_1 src1_sel:DWORD
	s_waitcnt vmcnt(39)
	v_lshrrev_b32_e32 v19, 16, v6
	v_fma_f16 v17, v118, v31, -v32
	v_mul_f16_sdwa v31, v116, v6 dst_sel:DWORD dst_unused:UNUSED_PAD src0_sel:WORD_1 src1_sel:DWORD
	ds_write_b32 v124, v12 offset:12544
	v_pack_b32_f16 v12, v13, v18
	v_fmac_f16_e32 v8, v118, v5
	v_mul_f16_sdwa v5, v116, v19 dst_sel:DWORD dst_unused:UNUSED_PAD src0_sel:WORD_1 src1_sel:DWORD
	s_waitcnt vmcnt(37)
	v_lshrrev_b32_e32 v18, 16, v4
	v_fma_f16 v13, v116, v19, -v31
	v_mul_f16_sdwa v19, v117, v4 dst_sel:DWORD dst_unused:UNUSED_PAD src0_sel:WORD_1 src1_sel:DWORD
	v_pack_b32_f16 v8, v8, v17
	v_fmac_f16_e32 v5, v116, v6
	v_mul_f16_sdwa v6, v117, v18 dst_sel:DWORD dst_unused:UNUSED_PAD src0_sel:WORD_1 src1_sel:DWORD
	s_waitcnt vmcnt(33)
	v_lshrrev_b32_e32 v17, 16, v9
	ds_write_b32 v124, v12 offset:15680
	v_fma_f16 v12, v117, v18, -v19
	v_mul_f16_sdwa v18, v115, v9 dst_sel:DWORD dst_unused:UNUSED_PAD src0_sel:WORD_1 src1_sel:DWORD
	v_pack_b32_f16 v5, v5, v13
	v_fmac_f16_e32 v6, v117, v4
	v_mul_f16_sdwa v4, v115, v17 dst_sel:DWORD dst_unused:UNUSED_PAD src0_sel:WORD_1 src1_sel:DWORD
	s_waitcnt vmcnt(31)
	v_lshrrev_b32_e32 v13, 16, v14
	ds_write_b32 v124, v8 offset:18816
	v_fma_f16 v8, v115, v17, -v18
	v_mul_f16_sdwa v17, v113, v14 dst_sel:DWORD dst_unused:UNUSED_PAD src0_sel:WORD_1 src1_sel:DWORD
	ds_write2_b32 v124, v30, v5 offset1:196
	v_pack_b32_f16 v5, v6, v12
	v_fmac_f16_e32 v4, v115, v9
	v_mul_f16_sdwa v6, v113, v13 dst_sel:DWORD dst_unused:UNUSED_PAD src0_sel:WORD_1 src1_sel:DWORD
	s_waitcnt vmcnt(29)
	v_lshrrev_b32_e32 v9, 16, v15
	v_fma_f16 v12, v113, v13, -v17
	v_mul_f16_sdwa v13, v111, v15 dst_sel:DWORD dst_unused:UNUSED_PAD src0_sel:WORD_1 src1_sel:DWORD
	v_pack_b32_f16 v4, v4, v8
	v_fmac_f16_e32 v6, v113, v14
	v_mul_f16_sdwa v8, v111, v9 dst_sel:DWORD dst_unused:UNUSED_PAD src0_sel:WORD_1 src1_sel:DWORD
	s_waitcnt vmcnt(28)
	v_lshrrev_b32_e32 v14, 16, v11
	v_fma_f16 v9, v111, v9, -v13
	v_mul_f16_sdwa v13, v108, v11 dst_sel:DWORD dst_unused:UNUSED_PAD src0_sel:WORD_1 src1_sel:DWORD
	;; [unrolled: 7-line block ×4, first 2 shown]
	v_pack_b32_f16 v12, v12, v13
	v_fmac_f16_e32 v9, v106, v7
	v_mul_f16_sdwa v7, v102, v11 dst_sel:DWORD dst_unused:UNUSED_PAD src0_sel:WORD_1 src1_sel:DWORD
	s_waitcnt vmcnt(25)
	v_lshrrev_b32_e32 v13, 16, v2
	v_fma_f16 v11, v102, v11, -v15
	s_waitcnt vmcnt(24)
	v_mul_f16_sdwa v15, v103, v2 dst_sel:DWORD dst_unused:UNUSED_PAD src0_sel:WORD_1 src1_sel:DWORD
	v_pack_b32_f16 v9, v9, v14
	v_fmac_f16_e32 v7, v102, v3
	v_mul_f16_sdwa v3, v103, v13 dst_sel:DWORD dst_unused:UNUSED_PAD src0_sel:WORD_1 src1_sel:DWORD
	s_waitcnt vmcnt(23)
	v_lshrrev_b32_e32 v14, 16, v1
	v_fma_f16 v13, v103, v13, -v15
	s_waitcnt vmcnt(22)
	v_mul_f16_sdwa v15, v101, v1 dst_sel:DWORD dst_unused:UNUSED_PAD src0_sel:WORD_1 src1_sel:DWORD
	v_pack_b32_f16 v7, v7, v11
	v_fmac_f16_e32 v3, v103, v2
	v_mul_f16_sdwa v2, v101, v14 dst_sel:DWORD dst_unused:UNUSED_PAD src0_sel:WORD_1 src1_sel:DWORD
	s_waitcnt vmcnt(21)
	v_lshrrev_b32_e32 v11, 16, v16
	s_waitcnt vmcnt(20)
	v_mul_f16_sdwa v17, v100, v16 dst_sel:DWORD dst_unused:UNUSED_PAD src0_sel:WORD_1 src1_sel:DWORD
	v_fma_f16 v14, v101, v14, -v15
	v_pack_b32_f16 v3, v3, v13
	v_fmac_f16_e32 v2, v101, v1
	v_mul_f16_sdwa v1, v100, v11 dst_sel:DWORD dst_unused:UNUSED_PAD src0_sel:WORD_1 src1_sel:DWORD
	s_waitcnt vmcnt(18)
	v_lshrrev_b32_e32 v13, 16, v20
	v_mul_f16_sdwa v15, v99, v20 dst_sel:DWORD dst_unused:UNUSED_PAD src0_sel:WORD_1 src1_sel:DWORD
	v_fma_f16 v11, v100, v11, -v17
	ds_write2_b32 v136, v5, v3 offset0:20 offset1:216
	v_pack_b32_f16 v2, v2, v14
	v_fmac_f16_e32 v1, v100, v16
	v_mul_f16_sdwa v3, v99, v13 dst_sel:DWORD dst_unused:UNUSED_PAD src0_sel:WORD_1 src1_sel:DWORD
	v_fma_f16 v5, v99, v13, -v15
	s_waitcnt vmcnt(17)
	v_lshrrev_b32_e32 v13, 16, v21
	s_waitcnt vmcnt(16)
	v_mul_f16_sdwa v14, v98, v21 dst_sel:DWORD dst_unused:UNUSED_PAD src0_sel:WORD_1 src1_sel:DWORD
	ds_write2_b32 v137, v4, v2 offset0:36 offset1:232
	v_pack_b32_f16 v1, v1, v11
	v_fmac_f16_e32 v3, v99, v20
	v_mul_f16_sdwa v2, v98, v13 dst_sel:DWORD dst_unused:UNUSED_PAD src0_sel:WORD_1 src1_sel:DWORD
	v_fma_f16 v4, v98, v13, -v14
	s_waitcnt vmcnt(14)
	v_lshrrev_b32_e32 v11, 16, v22
	v_mul_f16_sdwa v13, v97, v22 dst_sel:DWORD dst_unused:UNUSED_PAD src0_sel:WORD_1 src1_sel:DWORD
	ds_write2_b32 v138, v6, v1 offset0:52 offset1:248
	v_pack_b32_f16 v1, v3, v5
	v_fmac_f16_e32 v2, v98, v21
	v_mul_f16_sdwa v3, v97, v11 dst_sel:DWORD dst_unused:UNUSED_PAD src0_sel:WORD_1 src1_sel:DWORD
	v_fma_f16 v5, v97, v11, -v13
	s_waitcnt vmcnt(12)
	v_lshrrev_b32_e32 v6, 16, v23
	;; [unrolled: 8-line block ×5, first 2 shown]
	v_mul_f16_sdwa v8, v93, v25 dst_sel:DWORD dst_unused:UNUSED_PAD src0_sel:WORD_1 src1_sel:DWORD
	ds_write2_b32 v114, v7, v1 offset0:8 offset1:204
	v_pack_b32_f16 v1, v3, v5
	s_waitcnt vmcnt(4)
	v_mul_f16_sdwa v7, v92, v24 dst_sel:DWORD dst_unused:UNUSED_PAD src0_sel:WORD_1 src1_sel:DWORD
	v_mul_f16_sdwa v3, v93, v6 dst_sel:DWORD dst_unused:UNUSED_PAD src0_sel:WORD_1 src1_sel:DWORD
	v_fma_f16 v5, v93, v6, -v8
	v_lshrrev_b32_e32 v6, 16, v24
	ds_write_b32 v124, v1 offset:5488
	s_waitcnt vmcnt(3)
	v_lshrrev_b32_e32 v1, 16, v28
	s_waitcnt vmcnt(2)
	v_lshrrev_b32_e32 v9, 16, v29
	s_waitcnt vmcnt(0)
	v_mul_f16_sdwa v12, v90, v29 dst_sel:DWORD dst_unused:UNUSED_PAD src0_sel:WORD_1 src1_sel:DWORD
	v_mul_f16_sdwa v8, v92, v6 dst_sel:DWORD dst_unused:UNUSED_PAD src0_sel:WORD_1 src1_sel:DWORD
	v_fma_f16 v6, v92, v6, -v7
	v_mul_f16_sdwa v7, v91, v28 dst_sel:DWORD dst_unused:UNUSED_PAD src0_sel:WORD_1 src1_sel:DWORD
	v_mul_f16_sdwa v11, v91, v1 dst_sel:DWORD dst_unused:UNUSED_PAD src0_sel:WORD_1 src1_sel:DWORD
	;; [unrolled: 1-line block ×3, first 2 shown]
	v_fmac_f16_e32 v2, v94, v26
	v_fmac_f16_e32 v3, v93, v25
	;; [unrolled: 1-line block ×3, first 2 shown]
	v_fma_f16 v1, v91, v1, -v7
	v_fmac_f16_e32 v11, v91, v28
	v_fma_f16 v7, v90, v9, -v12
	v_fmac_f16_e32 v13, v90, v29
	v_pack_b32_f16 v2, v2, v4
	v_pack_b32_f16 v3, v3, v5
	;; [unrolled: 1-line block ×5, first 2 shown]
	ds_write_b32 v124, v2 offset:8624
	ds_write_b32 v124, v3 offset:11760
	;; [unrolled: 1-line block ×5, first 2 shown]
	s_waitcnt lgkmcnt(0)
	s_barrier
	buffer_gl0_inv
	ds_read2_b32 v[1:2], v132 offset0:16 offset1:212
	ds_read2_b32 v[3:4], v125 offset0:32 offset1:228
	;; [unrolled: 1-line block ×5, first 2 shown]
	ds_read2_b32 v[13:14], v129 offset1:196
	ds_read2_b32 v[15:16], v112 offset0:24 offset1:220
	ds_read2_b32 v[17:18], v110 offset0:40 offset1:236
	;; [unrolled: 1-line block ×6, first 2 shown]
	ds_read2_b32 v[27:28], v124 offset1:196
	ds_read2_b32 v[29:30], v114 offset0:8 offset1:204
	s_waitcnt lgkmcnt(0)
	s_barrier
	buffer_gl0_inv
	v_add_f16_sdwa v35, v11, v13 dst_sel:DWORD dst_unused:UNUSED_PAD src0_sel:WORD_1 src1_sel:WORD_1
	v_sub_f16_e32 v36, v13, v11
	v_add_f16_sdwa v41, v12, v14 dst_sel:DWORD dst_unused:UNUSED_PAD src0_sel:WORD_1 src1_sel:WORD_1
	v_sub_f16_e32 v42, v14, v12
	v_add_f16_sdwa v47, v19, v21 dst_sel:DWORD dst_unused:UNUSED_PAD src0_sel:WORD_1 src1_sel:WORD_1
	v_add_f16_sdwa v45, v17, v23 dst_sel:DWORD dst_unused:UNUSED_PAD src0_sel:WORD_1 src1_sel:WORD_1
	v_add_f16_e32 v9, v1, v3
	v_add_f16_sdwa v31, v1, v3 dst_sel:DWORD dst_unused:UNUSED_PAD src0_sel:WORD_1 src1_sel:WORD_1
	v_sub_f16_e32 v32, v1, v3
	v_sub_f16_sdwa v1, v1, v3 dst_sel:DWORD dst_unused:UNUSED_PAD src0_sel:WORD_1 src1_sel:WORD_1
	v_add_f16_e32 v3, v5, v7
	v_add_f16_sdwa v33, v5, v7 dst_sel:DWORD dst_unused:UNUSED_PAD src0_sel:WORD_1 src1_sel:WORD_1
	v_sub_f16_e32 v34, v5, v7
	v_sub_f16_sdwa v5, v5, v7 dst_sel:DWORD dst_unused:UNUSED_PAD src0_sel:WORD_1 src1_sel:WORD_1
	v_add_f16_e32 v7, v11, v13
	v_sub_f16_sdwa v11, v13, v11 dst_sel:DWORD dst_unused:UNUSED_PAD src0_sel:WORD_1 src1_sel:WORD_1
	v_add_f16_e32 v13, v2, v4
	v_add_f16_sdwa v37, v2, v4 dst_sel:DWORD dst_unused:UNUSED_PAD src0_sel:WORD_1 src1_sel:WORD_1
	v_sub_f16_e32 v38, v2, v4
	v_sub_f16_sdwa v2, v2, v4 dst_sel:DWORD dst_unused:UNUSED_PAD src0_sel:WORD_1 src1_sel:WORD_1
	v_add_f16_e32 v4, v6, v8
	v_add_f16_sdwa v39, v6, v8 dst_sel:DWORD dst_unused:UNUSED_PAD src0_sel:WORD_1 src1_sel:WORD_1
	v_sub_f16_e32 v40, v6, v8
	v_sub_f16_sdwa v6, v6, v8 dst_sel:DWORD dst_unused:UNUSED_PAD src0_sel:WORD_1 src1_sel:WORD_1
	v_add_f16_e32 v8, v12, v14
	v_sub_f16_sdwa v12, v14, v12 dst_sel:DWORD dst_unused:UNUSED_PAD src0_sel:WORD_1 src1_sel:WORD_1
	v_add_f16_e32 v14, v15, v25
	v_add_f16_sdwa v43, v15, v25 dst_sel:DWORD dst_unused:UNUSED_PAD src0_sel:WORD_1 src1_sel:WORD_1
	v_sub_f16_e32 v44, v15, v25
	v_sub_f16_sdwa v15, v15, v25 dst_sel:DWORD dst_unused:UNUSED_PAD src0_sel:WORD_1 src1_sel:WORD_1
	v_add_f16_e32 v25, v17, v23
	v_sub_f16_e32 v46, v17, v23
	v_sub_f16_sdwa v17, v17, v23 dst_sel:DWORD dst_unused:UNUSED_PAD src0_sel:WORD_1 src1_sel:WORD_1
	v_add_f16_e32 v23, v19, v21
	;; [unrolled: 3-line block ×3, first 2 shown]
	v_add_f16_sdwa v49, v16, v26 dst_sel:DWORD dst_unused:UNUSED_PAD src0_sel:WORD_1 src1_sel:WORD_1
	v_sub_f16_e32 v50, v16, v26
	v_sub_f16_sdwa v16, v16, v26 dst_sel:DWORD dst_unused:UNUSED_PAD src0_sel:WORD_1 src1_sel:WORD_1
	v_add_f16_e32 v26, v18, v24
	v_add_f16_sdwa v51, v18, v24 dst_sel:DWORD dst_unused:UNUSED_PAD src0_sel:WORD_1 src1_sel:WORD_1
	v_sub_f16_e32 v52, v18, v24
	v_sub_f16_sdwa v18, v18, v24 dst_sel:DWORD dst_unused:UNUSED_PAD src0_sel:WORD_1 src1_sel:WORD_1
	v_add_f16_e32 v24, v20, v22
	;; [unrolled: 4-line block ×3, first 2 shown]
	v_add_f16_e32 v55, v33, v31
	v_sub_f16_e32 v56, v9, v7
	v_sub_f16_e32 v57, v7, v3
	v_sub_f16_e32 v58, v31, v35
	v_sub_f16_e32 v59, v35, v33
	v_sub_f16_e32 v61, v36, v34
	v_add_f16_e32 v62, v11, v5
	v_sub_f16_e32 v63, v11, v5
	v_sub_f16_e32 v3, v3, v9
	;; [unrolled: 1-line block ×4, first 2 shown]
	v_add_f16_e32 v33, v4, v13
	v_add_f16_e32 v64, v39, v37
	;; [unrolled: 1-line block ×5, first 2 shown]
	v_sub_f16_e32 v36, v32, v36
	v_sub_f16_e32 v11, v1, v11
	;; [unrolled: 1-line block ×6, first 2 shown]
	v_add_f16_e32 v66, v42, v40
	v_add_f16_e32 v68, v12, v6
	v_mul_f16_e32 v35, 0xb846, v61
	v_add_f16_e32 v1, v62, v1
	v_mul_f16_e32 v55, 0x3a52, v56
	v_mul_f16_e32 v56, 0x3a52, v58
	v_mul_f16_e32 v58, 0xb846, v63
	v_add_f16_e32 v8, v8, v33
	v_add_f16_e32 v33, v41, v64
	v_mul_f16_e32 v62, 0xbb00, v5
	v_add_f16_e32 v64, v27, v7
	v_add_f16_sdwa v27, v27, v22 dst_sel:DWORD dst_unused:UNUSED_PAD src0_sel:WORD_1 src1_sel:DWORD
	v_sub_f16_e32 v65, v39, v37
	v_sub_f16_e32 v37, v37, v41
	;; [unrolled: 1-line block ×9, first 2 shown]
	v_add_f16_e32 v32, v60, v32
	v_add_f16_e32 v38, v66, v38
	;; [unrolled: 1-line block ×3, first 2 shown]
	v_mul_f16_e32 v41, 0x2b26, v57
	v_mul_f16_e32 v60, 0x2b26, v59
	;; [unrolled: 1-line block ×3, first 2 shown]
	v_fmamk_f16 v66, v36, 0x3574, v35
	v_fmamk_f16 v68, v11, 0x3574, v58
	;; [unrolled: 1-line block ×4, first 2 shown]
	v_fma_f16 v5, v5, 0x3b00, -v58
	v_fmac_f16_e32 v62, 0xb574, v11
	v_fmamk_f16 v7, v7, 0xbcab, v64
	v_fmamk_f16 v11, v22, 0xbcab, v27
	v_fma_f16 v41, v3, 0x39e0, -v41
	v_fma_f16 v3, v3, 0xb9e0, -v55
	;; [unrolled: 1-line block ×5, first 2 shown]
	v_fmac_f16_e32 v61, 0xb574, v36
	v_pack_b32_f16 v22, v64, v27
	v_fmac_f16_e32 v66, 0x370e, v32
	v_fmac_f16_e32 v68, 0x370e, v1
	;; [unrolled: 1-line block ×4, first 2 shown]
	v_add_f16_e32 v1, v57, v7
	v_add_f16_e32 v27, v59, v11
	v_mul_f16_e32 v13, 0x3a52, v13
	v_fmac_f16_e32 v31, 0x370e, v32
	v_fmac_f16_e32 v61, 0x370e, v32
	v_add_f16_e32 v32, v41, v7
	v_add_f16_e32 v3, v3, v7
	;; [unrolled: 1-line block ×5, first 2 shown]
	v_sub_f16_e32 v36, v27, v66
	v_mul_f16_e32 v63, 0x2b26, v4
	v_sub_f16_e32 v55, v1, v68
	v_fmamk_f16 v1, v4, 0x2b26, v13
	v_mul_f16_e32 v4, 0x3a52, v37
	v_pack_b32_f16 v11, v11, v36
	v_add_f16_e32 v35, v28, v8
	v_add_f16_sdwa v28, v28, v33 dst_sel:DWORD dst_unused:UNUSED_PAD src0_sel:WORD_1 src1_sel:DWORD
	v_fma_f16 v13, v34, 0xb9e0, -v13
	v_fmamk_f16 v37, v39, 0x2b26, v4
	ds_write2_b32 v141, v22, v11 offset1:1
	v_mul_f16_e32 v11, 0x2b26, v39
	v_fma_f16 v22, v34, 0x39e0, -v63
	v_mul_f16_e32 v34, 0xb846, v67
	v_mul_f16_e32 v39, 0xbb00, v40
	;; [unrolled: 1-line block ×3, first 2 shown]
	v_fma_f16 v11, v65, 0x39e0, -v11
	v_fma_f16 v4, v65, 0xb9e0, -v4
	;; [unrolled: 1-line block ×3, first 2 shown]
	v_fmamk_f16 v34, v42, 0x3574, v34
	v_fmac_f16_e32 v39, 0xb574, v42
	v_mul_f16_e32 v42, 0xbb00, v6
	v_fmamk_f16 v8, v8, 0xbcab, v35
	v_fma_f16 v6, v6, 0x3b00, -v56
	v_fmamk_f16 v56, v12, 0x3574, v56
	v_fmamk_f16 v33, v33, 0xbcab, v28
	v_fmac_f16_e32 v42, 0xb574, v12
	v_add_f16_e32 v1, v1, v8
	v_add_f16_e32 v12, v22, v8
	v_fmac_f16_e32 v6, 0x370e, v2
	v_add_f16_e32 v11, v11, v33
	v_add_f16_e32 v4, v4, v33
	v_fmac_f16_e32 v40, 0x370e, v38
	v_fmac_f16_e32 v39, 0x370e, v38
	;; [unrolled: 1-line block ×3, first 2 shown]
	v_add_f16_e32 v8, v13, v8
	v_add_f16_e32 v13, v37, v33
	v_fmac_f16_e32 v34, 0x370e, v38
	v_fmac_f16_e32 v42, 0x370e, v2
	v_sub_f16_e32 v2, v12, v6
	v_add_f16_e32 v6, v6, v12
	v_add_f16_e32 v12, v40, v11
	v_sub_f16_e32 v22, v11, v40
	v_sub_f16_e32 v37, v4, v39
	v_add_f16_e32 v38, v39, v4
	v_add_f16_e32 v39, v1, v56
	v_sub_f16_e32 v40, v1, v56
	v_add_f16_e32 v1, v25, v14
	v_add_f16_e32 v33, v42, v8
	v_sub_f16_e32 v8, v8, v42
	v_sub_f16_e32 v42, v13, v34
	v_add_f16_e32 v13, v34, v13
	v_sub_f16_e32 v4, v25, v14
	v_sub_f16_e32 v11, v14, v23
	v_sub_f16_e32 v14, v23, v25
	v_add_f16_e32 v1, v23, v1
	v_add_f16_e32 v23, v45, v43
	v_sub_f16_e32 v25, v45, v43
	v_sub_f16_e32 v34, v43, v47
	v_sub_f16_e32 v43, v47, v45
	v_add_f16_e32 v45, v48, v46
	v_add_f16_e32 v23, v47, v23
	v_sub_f16_e32 v47, v48, v46
	v_sub_f16_e32 v48, v44, v48
	v_sub_f16_e32 v46, v46, v44
	v_add_f16_e32 v44, v45, v44
	v_add_f16_e32 v45, v19, v17
	v_sub_f16_e32 v56, v19, v17
	v_mul_f16_e32 v11, 0x3a52, v11
	v_sub_f16_e32 v19, v15, v19
	v_sub_f16_e32 v17, v17, v15
	v_mul_f16_e32 v57, 0x2b26, v14
	v_add_f16_e32 v15, v45, v15
	v_mul_f16_e32 v34, 0x3a52, v34
	v_mul_f16_e32 v45, 0x2b26, v43
	v_fmamk_f16 v14, v14, 0x2b26, v11
	v_fma_f16 v57, v4, 0x39e0, -v57
	v_fma_f16 v4, v4, 0xb9e0, -v11
	v_mul_f16_e32 v11, 0xb846, v47
	v_fmamk_f16 v43, v43, 0x2b26, v34
	v_fma_f16 v45, v25, 0x39e0, -v45
	v_fma_f16 v25, v25, 0xb9e0, -v34
	v_mul_f16_e32 v34, 0xbb00, v46
	v_fma_f16 v46, v46, 0x3b00, -v11
	v_fmamk_f16 v11, v48, 0x3574, v11
	v_add_f16_e32 v47, v29, v1
	v_mul_f16_e32 v56, 0xb846, v56
	v_fmac_f16_e32 v34, 0xb574, v48
	v_mul_f16_e32 v48, 0xbb00, v17
	v_add_f16_sdwa v29, v29, v23 dst_sel:DWORD dst_unused:UNUSED_PAD src0_sel:WORD_1 src1_sel:DWORD
	v_fmamk_f16 v1, v1, 0xbcab, v47
	v_sub_f16_e32 v41, v32, v5
	v_add_f16_e32 v5, v5, v32
	v_fmac_f16_e32 v48, 0xb574, v19
	v_add_f16_e32 v32, v31, v7
	v_sub_f16_e32 v7, v7, v31
	v_add_f16_e32 v31, v62, v3
	v_sub_f16_e32 v36, v9, v61
	v_fma_f16 v17, v17, 0x3b00, -v56
	v_fmamk_f16 v56, v19, 0x3574, v56
	v_fmamk_f16 v23, v23, 0xbcab, v29
	v_add_f16_e32 v14, v14, v1
	v_add_f16_e32 v19, v57, v1
	;; [unrolled: 1-line block ×3, first 2 shown]
	v_fmac_f16_e32 v48, 0x370e, v15
	v_add_f16_e32 v4, v43, v23
	v_add_f16_e32 v43, v45, v23
	;; [unrolled: 1-line block ×3, first 2 shown]
	v_fmac_f16_e32 v11, 0x370e, v44
	v_fmac_f16_e32 v46, 0x370e, v44
	v_pack_b32_f16 v25, v41, v32
	v_pack_b32_f16 v31, v31, v36
	v_fmac_f16_e32 v17, 0x370e, v15
	v_fmac_f16_e32 v34, 0x370e, v44
	v_add_f16_e32 v32, v48, v1
	v_sub_f16_e32 v36, v1, v48
	v_add_f16_e32 v1, v26, v21
	ds_write2_b32 v141, v31, v25 offset0:2 offset1:3
	v_sub_f16_e32 v25, v19, v17
	v_add_f16_e32 v17, v17, v19
	v_add_f16_e32 v19, v46, v43
	v_sub_f16_e32 v31, v43, v46
	v_sub_f16_e32 v41, v23, v34
	v_add_f16_e32 v23, v34, v23
	v_sub_f16_e32 v34, v4, v11
	v_add_f16_e32 v43, v11, v4
	v_sub_f16_e32 v4, v26, v21
	v_sub_f16_e32 v11, v21, v24
	;; [unrolled: 1-line block ×3, first 2 shown]
	v_add_f16_e32 v1, v24, v1
	v_add_f16_e32 v24, v51, v49
	v_sub_f16_e32 v44, v49, v53
	v_sub_f16_e32 v45, v53, v51
	v_add_f16_e32 v46, v54, v52
	v_sub_f16_e32 v48, v54, v52
	v_add_f16_e32 v24, v53, v24
	v_mul_f16_e32 v11, 0x3a52, v11
	v_mul_f16_e32 v53, 0x2b26, v21
	v_sub_f16_e32 v26, v51, v49
	v_sub_f16_e32 v49, v50, v54
	;; [unrolled: 1-line block ×3, first 2 shown]
	v_add_f16_e32 v46, v46, v50
	v_add_f16_e32 v50, v20, v18
	v_sub_f16_e32 v52, v20, v18
	v_sub_f16_e32 v18, v18, v16
	v_fmamk_f16 v21, v21, 0x2b26, v11
	v_mul_f16_e32 v44, 0x3a52, v44
	v_mul_f16_e32 v54, 0x2b26, v45
	v_fma_f16 v53, v4, 0x39e0, -v53
	v_fma_f16 v4, v4, 0xb9e0, -v11
	v_mul_f16_e32 v11, 0xb846, v48
	v_sub_f16_e32 v20, v16, v20
	v_add_f16_e32 v16, v50, v16
	v_add_f16_e32 v50, v30, v1
	v_add_f16_sdwa v30, v30, v24 dst_sel:DWORD dst_unused:UNUSED_PAD src0_sel:WORD_1 src1_sel:DWORD
	v_fmamk_f16 v45, v45, 0x2b26, v44
	v_fma_f16 v48, v26, 0x39e0, -v54
	v_mul_f16_e32 v54, 0xbb00, v51
	v_fma_f16 v26, v26, 0xb9e0, -v44
	v_fma_f16 v44, v51, 0x3b00, -v11
	v_mul_f16_e32 v51, 0xb846, v52
	v_fmamk_f16 v52, v49, 0x3574, v11
	v_mul_f16_e32 v11, 0xbb00, v18
	v_fmamk_f16 v1, v1, 0xbcab, v50
	v_fmamk_f16 v24, v24, 0xbcab, v30
	v_fma_f16 v18, v18, 0x3b00, -v51
	v_fmac_f16_e32 v54, 0xb574, v49
	v_fmac_f16_e32 v11, 0xb574, v20
	v_fmamk_f16 v49, v20, 0x3574, v51
	v_add_f16_e32 v20, v21, v1
	v_add_f16_e32 v21, v53, v1
	;; [unrolled: 1-line block ×4, first 2 shown]
	v_fmac_f16_e32 v44, 0x370e, v46
	v_fmac_f16_e32 v18, 0x370e, v16
	;; [unrolled: 1-line block ×3, first 2 shown]
	v_add_f16_e32 v27, v66, v27
	v_add_f16_e32 v45, v45, v24
	v_add_f16_e32 v24, v26, v24
	v_fmac_f16_e32 v52, 0x370e, v46
	v_fmac_f16_e32 v54, 0x370e, v46
	v_sub_f16_e32 v26, v21, v18
	v_add_f16_e32 v18, v18, v21
	v_add_f16_e32 v21, v44, v48
	v_sub_f16_e32 v44, v48, v44
	v_add_f16_e32 v46, v11, v1
	v_sub_f16_e32 v48, v1, v11
	v_and_b32_e32 v1, 0xff, v0
	v_sub_f16_e32 v3, v3, v62
	v_add_f16_e32 v9, v61, v9
	v_pack_b32_f16 v5, v5, v7
	v_pack_b32_f16 v7, v55, v27
	;; [unrolled: 1-line block ×3, first 2 shown]
	v_mul_lo_u16 v39, v1, 37
	v_pack_b32_f16 v3, v3, v9
	v_add_co_u32 v4, null, 0xc4, v121
	ds_write2_b32 v141, v5, v3 offset0:4 offset1:5
	ds_write_b32 v141, v7 offset:24
	v_lshrrev_b16 v39, 8, v39
	v_mul_u32_u24_e32 v9, 7, v4
	v_pack_b32_f16 v28, v35, v28
	v_pack_b32_f16 v2, v2, v12
	;; [unrolled: 1-line block ×3, first 2 shown]
	v_sub_nc_u16 v3, v0, v39
	v_lshlrev_b32_e32 v151, 2, v9
	v_fmac_f16_e32 v56, 0x370e, v15
	v_add_co_u32 v11, null, 0x188, v121
	v_lshrrev_b16 v3, 1, v3
	v_pack_b32_f16 v8, v8, v38
	v_pack_b32_f16 v6, v6, v22
	ds_write2_b32 v151, v28, v27 offset1:1
	ds_write2_b32 v151, v5, v2 offset0:2 offset1:3
	ds_write2_b32 v151, v6, v8 offset0:4 offset1:5
	v_and_b32_e32 v3, 0x7f, v3
	v_add_f16_e32 v15, v14, v56
	v_mul_u32_u24_e32 v7, 7, v11
	v_pack_b32_f16 v12, v40, v13
	v_pack_b32_f16 v13, v47, v29
	v_add_nc_u16 v2, v3, v39
	v_sub_f16_e32 v14, v14, v56
	v_lshlrev_b32_e32 v143, 2, v7
	v_pack_b32_f16 v7, v15, v34
	v_fmac_f16_e32 v49, 0x370e, v16
	v_lshrrev_b16 v3, 2, v2
	v_add_co_u32 v16, null, 0x24c, v121
	ds_write_b32 v151, v12 offset:24
	ds_write2_b32 v143, v13, v7 offset1:1
	v_pack_b32_f16 v5, v25, v19
	v_pack_b32_f16 v6, v32, v41
	v_mul_lo_u16 v13, v3, 7
	v_pack_b32_f16 v2, v36, v23
	v_pack_b32_f16 v7, v17, v31
	;; [unrolled: 1-line block ×3, first 2 shown]
	v_add_f16_e32 v53, v20, v49
	v_sub_f16_e32 v35, v45, v52
	v_mul_u32_u24_e32 v12, 7, v16
	ds_write2_b32 v143, v6, v5 offset0:2 offset1:3
	ds_write2_b32 v143, v7, v2 offset0:4 offset1:5
	ds_write_b32 v143, v8 offset:24
	v_sub_nc_u16 v2, v0, v13
	v_sub_f16_e32 v51, v24, v54
	v_pack_b32_f16 v8, v53, v35
	v_lshlrev_b32_e32 v144, 2, v12
	v_pack_b32_f16 v12, v50, v30
	v_pack_b32_f16 v13, v26, v21
	v_mov_b32_e32 v21, 0x2493
	v_add_f16_e32 v24, v54, v24
	v_sub_f16_e32 v20, v20, v49
	v_add_f16_e32 v9, v52, v45
	v_and_b32_e32 v5, 0xff, v2
	v_pack_b32_f16 v14, v46, v51
	ds_write2_b32 v144, v12, v8 offset1:1
	v_mul_u32_u24_sdwa v8, v4, v21 dst_sel:DWORD dst_unused:UNUSED_PAD src0_sel:WORD_0 src1_sel:DWORD
	v_pack_b32_f16 v2, v48, v24
	v_pack_b32_f16 v15, v18, v44
	;; [unrolled: 1-line block ×3, first 2 shown]
	v_mad_u64_u32 v[6:7], null, v5, 12, s[2:3]
	ds_write2_b32 v144, v14, v13 offset0:2 offset1:3
	ds_write2_b32 v144, v15, v2 offset0:4 offset1:5
	ds_write_b32 v144, v9 offset:24
	v_lshrrev_b32_e32 v2, 16, v8
	s_waitcnt lgkmcnt(0)
	s_barrier
	buffer_gl0_inv
	v_add_nc_u16 v18, v0, 0x310
	global_load_dwordx3 v[32:34], v[6:7], off
	v_sub_nc_u16 v6, v4, v2
	v_add_nc_u16 v19, v0, 0x3d4
	v_add_nc_u16 v17, v0, 0x498
	v_lshrrev_b16 v1, 2, v1
	v_lshrrev_b16 v6, 1, v6
	v_mul_lo_u16 v1, v1, 37
	v_add_nc_u16 v2, v6, v2
	v_lshrrev_b16 v2, 2, v2
	v_mul_lo_u16 v6, v2, 7
	v_sub_nc_u16 v46, v4, v6
	v_mul_u32_u24_sdwa v6, v11, v21 dst_sel:DWORD dst_unused:UNUSED_PAD src0_sel:WORD_0 src1_sel:DWORD
	v_mul_lo_u16 v7, v46, 12
	v_lshrrev_b32_e32 v8, 16, v6
	v_mad_u16 v2, v2, 28, v46
	v_and_b32_e32 v6, 0xffff, v7
	v_sub_nc_u16 v9, v11, v8
	v_lshlrev_b32_sdwa v145, v10, v2 dst_sel:DWORD dst_unused:UNUSED_PAD src0_sel:DWORD src1_sel:WORD_0
	v_add_co_u32 v6, s0, s2, v6
	v_add_co_ci_u32_e64 v7, null, s3, 0, s0
	v_lshrrev_b16 v9, 1, v9
	global_load_dwordx3 v[38:40], v[6:7], off
	v_mul_u32_u24_sdwa v7, v16, v21 dst_sel:DWORD dst_unused:UNUSED_PAD src0_sel:WORD_0 src1_sel:DWORD
	v_add_nc_u16 v6, v9, v8
	v_lshrrev_b32_e32 v8, 16, v7
	v_lshrrev_b16 v64, 2, v6
	v_sub_nc_u16 v7, v16, v8
	v_mul_lo_u16 v6, v64, 7
	v_lshrrev_b16 v9, 1, v7
	v_sub_nc_u16 v65, v11, v6
	v_add_nc_u16 v8, v9, v8
	v_mul_lo_u16 v6, v65, 12
	v_lshrrev_b16 v66, 2, v8
	v_and_b32_e32 v6, 0xffff, v6
	v_add_co_u32 v6, s0, s2, v6
	v_add_co_ci_u32_e64 v7, null, s3, 0, s0
	global_load_dwordx3 v[53:55], v[6:7], off
	v_mul_lo_u16 v6, v66, 7
	v_sub_nc_u16 v67, v16, v6
	v_mul_u32_u24_sdwa v6, v18, v21 dst_sel:DWORD dst_unused:UNUSED_PAD src0_sel:WORD_0 src1_sel:DWORD
	v_mul_lo_u16 v7, v67, 12
	v_lshrrev_b32_e32 v8, 16, v6
	v_and_b32_e32 v6, 0xffff, v7
	v_sub_nc_u16 v9, v18, v8
	v_add_co_u32 v6, s0, s2, v6
	v_add_co_ci_u32_e64 v7, null, s3, 0, s0
	v_lshrrev_b16 v9, 1, v9
	global_load_dwordx3 v[50:52], v[6:7], off
	v_mul_u32_u24_sdwa v7, v19, v21 dst_sel:DWORD dst_unused:UNUSED_PAD src0_sel:WORD_0 src1_sel:DWORD
	v_add_nc_u16 v6, v9, v8
	v_mul_u32_u24_sdwa v9, v17, v21 dst_sel:DWORD dst_unused:UNUSED_PAD src0_sel:WORD_0 src1_sel:DWORD
	v_lshrrev_b32_e32 v8, 16, v7
	v_lshrrev_b16 v68, 2, v6
	v_sub_nc_u16 v12, v19, v8
	v_mul_lo_u16 v6, v68, 7
	v_sub_nc_u16 v69, v18, v6
	v_mul_lo_u16 v6, v69, 12
	v_and_b32_e32 v6, 0xffff, v6
	v_add_co_u32 v6, s0, s2, v6
	v_add_co_ci_u32_e64 v7, null, s3, 0, s0
	global_load_dwordx3 v[47:49], v[6:7], off
	v_lshrrev_b16 v7, 1, v12
	v_lshrrev_b32_e32 v6, 16, v9
	v_add_nc_u16 v7, v7, v8
	v_sub_nc_u16 v9, v17, v6
	v_lshrrev_b16 v70, 2, v7
	v_lshrrev_b16 v8, 1, v9
	v_mul_lo_u16 v7, v70, 7
	v_add_nc_u16 v6, v8, v6
	v_sub_nc_u16 v72, v19, v7
	v_lshrrev_b16 v6, 2, v6
	v_mul_lo_u16 v8, v72, 12
	v_mul_lo_u16 v7, v6, 7
	v_and_b32_e32 v8, 0xffff, v8
	v_sub_nc_u16 v7, v17, v7
	v_add_co_u32 v8, s0, s2, v8
	v_add_co_ci_u32_e64 v9, null, s3, 0, s0
	v_mul_lo_u16 v12, v7, 12
	v_mad_u16 v6, v6, 28, v7
	global_load_dwordx3 v[41:43], v[8:9], off
	v_and_b32_e32 v12, 0xffff, v12
	v_lshlrev_b32_sdwa v153, v10, v6 dst_sel:DWORD dst_unused:UNUSED_PAD src0_sel:DWORD src1_sel:WORD_0
	v_add_co_u32 v8, s0, s2, v12
	v_add_co_ci_u32_e64 v9, null, s3, 0, s0
	global_load_dwordx3 v[35:37], v[8:9], off
	ds_read2_b32 v[8:9], v112 offset0:24 offset1:220
	ds_read2_b32 v[12:13], v109 offset0:56 offset1:252
	;; [unrolled: 1-line block ×3, first 2 shown]
	ds_read2_b32 v[20:21], v124 offset1:196
	s_waitcnt lgkmcnt(3)
	v_lshrrev_b32_e32 v22, 16, v9
	s_waitcnt lgkmcnt(2)
	v_lshrrev_b32_e32 v23, 16, v12
	;; [unrolled: 2-line block ×4, first 2 shown]
	v_lshrrev_b32_e32 v82, 16, v21
	s_waitcnt vmcnt(6)
	v_mul_f16_sdwa v27, v9, v32 dst_sel:DWORD dst_unused:UNUSED_PAD src0_sel:DWORD src1_sel:WORD_1
	v_mul_f16_sdwa v30, v12, v33 dst_sel:DWORD dst_unused:UNUSED_PAD src0_sel:DWORD src1_sel:WORD_1
	;; [unrolled: 1-line block ×5, first 2 shown]
	v_fmac_f16_e32 v27, v22, v32
	v_fmac_f16_e32 v30, v23, v33
	v_fmac_f16_e32 v31, v24, v34
	v_fma_f16 v9, v9, v32, -v26
	v_mul_f16_sdwa v29, v24, v34 dst_sel:DWORD dst_unused:UNUSED_PAD src0_sel:DWORD src1_sel:WORD_1
	v_fma_f16 v12, v12, v33, -v28
	v_sub_f16_e32 v26, v25, v30
	v_sub_f16_e32 v22, v27, v31
	v_fma_f16 v15, v15, v34, -v29
	v_sub_f16_e32 v12, v20, v12
	v_fma_f16 v23, v25, 2.0, -v26
	v_fma_f16 v24, v27, 2.0, -v22
	v_mov_b32_e32 v25, 28
	v_sub_f16_e32 v15, v9, v15
	v_sub_f16_e32 v74, v12, v22
	v_fma_f16 v20, v20, 2.0, -v12
	v_sub_f16_e32 v73, v23, v24
	v_mul_u32_u24_sdwa v3, v3, v25 dst_sel:DWORD dst_unused:UNUSED_PAD src0_sel:WORD_0 src1_sel:DWORD
	v_fma_f16 v9, v9, 2.0, -v15
	v_add_f16_e32 v15, v26, v15
	v_fma_f16 v12, v12, 2.0, -v74
	v_fma_f16 v27, v23, 2.0, -v73
	ds_read2_b32 v[22:23], v131 offset0:32 offset1:228
	ds_read2_b32 v[24:25], v105 offset0:24 offset1:220
	v_sub_f16_e32 v9, v20, v9
	v_fma_f16 v26, v26, 2.0, -v15
	v_add_lshl_u32 v142, v3, v5, 2
	v_fma_f16 v20, v20, 2.0, -v9
	v_pack_b32_f16 v5, v12, v26
	v_lshrrev_b32_e32 v12, 16, v13
	v_pack_b32_f16 v3, v20, v27
	ds_read2_b32 v[26:27], v114 offset0:8 offset1:204
	ds_read2_b32 v[28:29], v129 offset1:196
	ds_read2_b32 v[30:31], v110 offset0:40 offset1:236
	ds_read2_b32 v[44:45], v125 offset0:32 offset1:228
	;; [unrolled: 1-line block ×6, first 2 shown]
	s_waitcnt vmcnt(0) lgkmcnt(0)
	s_barrier
	buffer_gl0_inv
	ds_write2_b32 v142, v3, v5 offset1:7
	v_lshrrev_b32_e32 v78, 16, v22
	v_mul_f16_sdwa v20, v12, v39 dst_sel:DWORD dst_unused:UNUSED_PAD src0_sel:DWORD src1_sel:WORD_1
	v_mul_f16_sdwa v75, v13, v39 dst_sel:DWORD dst_unused:UNUSED_PAD src0_sel:DWORD src1_sel:WORD_1
	v_lshrrev_b32_e32 v79, 16, v24
	v_mul_f16_sdwa v81, v24, v40 dst_sel:DWORD dst_unused:UNUSED_PAD src0_sel:DWORD src1_sel:WORD_1
	v_pack_b32_f16 v3, v9, v73
	v_fma_f16 v13, v13, v39, -v20
	v_fmac_f16_e32 v75, v12, v39
	v_mul_f16_sdwa v12, v22, v38 dst_sel:DWORD dst_unused:UNUSED_PAD src0_sel:DWORD src1_sel:WORD_1
	v_mul_f16_sdwa v20, v78, v38 dst_sel:DWORD dst_unused:UNUSED_PAD src0_sel:DWORD src1_sel:WORD_1
	;; [unrolled: 1-line block ×3, first 2 shown]
	v_fmac_f16_e32 v81, v79, v40
	v_sub_f16_e32 v13, v21, v13
	v_fmac_f16_e32 v12, v78, v38
	v_fma_f16 v20, v22, v38, -v20
	v_fma_f16 v22, v24, v40, -v80
	v_sub_f16_e32 v24, v82, v75
	v_fma_f16 v21, v21, 2.0, -v13
	v_sub_f16_e32 v75, v12, v81
	v_lshrrev_b32_e32 v73, 16, v23
	v_sub_f16_e32 v22, v20, v22
	v_fma_f16 v78, v82, 2.0, -v24
	v_fma_f16 v12, v12, 2.0, -v75
	;; [unrolled: 1-line block ×3, first 2 shown]
	v_sub_f16_e32 v9, v78, v12
	v_pack_b32_f16 v12, v74, v15
	v_sub_f16_e32 v5, v21, v20
	v_sub_f16_e32 v15, v13, v75
	v_add_f16_e32 v20, v24, v22
	v_fma_f16 v22, v78, 2.0, -v9
	v_lshrrev_b32_e32 v74, 16, v25
	v_fma_f16 v21, v21, 2.0, -v5
	v_fma_f16 v13, v13, 2.0, -v15
	;; [unrolled: 1-line block ×3, first 2 shown]
	v_pack_b32_f16 v5, v5, v9
	v_pack_b32_f16 v15, v15, v20
	v_mul_f16_sdwa v46, v73, v53 dst_sel:DWORD dst_unused:UNUSED_PAD src0_sel:DWORD src1_sel:WORD_1
	v_pack_b32_f16 v21, v21, v22
	v_pack_b32_f16 v13, v13, v24
	v_mul_f16_sdwa v22, v74, v55 dst_sel:DWORD dst_unused:UNUSED_PAD src0_sel:DWORD src1_sel:WORD_1
	v_lshrrev_b32_e32 v24, 16, v28
	v_fma_f16 v46, v23, v53, -v46
	v_mul_f16_sdwa v75, v28, v54 dst_sel:DWORD dst_unused:UNUSED_PAD src0_sel:DWORD src1_sel:WORD_1
	v_mul_f16_sdwa v23, v23, v53 dst_sel:DWORD dst_unused:UNUSED_PAD src0_sel:DWORD src1_sel:WORD_1
	v_fma_f16 v22, v25, v55, -v22
	v_mul_f16_sdwa v78, v24, v54 dst_sel:DWORD dst_unused:UNUSED_PAD src0_sel:DWORD src1_sel:WORD_1
	v_mul_f16_sdwa v25, v25, v55 dst_sel:DWORD dst_unused:UNUSED_PAD src0_sel:DWORD src1_sel:WORD_1
	v_fmac_f16_e32 v75, v24, v54
	v_lshrrev_b32_e32 v24, 16, v26
	v_fmac_f16_e32 v23, v73, v53
	v_fma_f16 v28, v28, v54, -v78
	v_fmac_f16_e32 v25, v74, v55
	v_sub_f16_e32 v22, v46, v22
	v_sub_f16_e32 v2, v24, v75
	ds_write2_b32 v142, v3, v12 offset0:14 offset1:21
	ds_write2_b32 v145, v21, v13 offset1:7
	v_sub_f16_e32 v28, v26, v28
	v_sub_f16_e32 v25, v23, v25
	ds_write2_b32 v145, v5, v15 offset0:14 offset1:21
	v_fma_f16 v9, v24, 2.0, -v2
	v_fma_f16 v24, v46, 2.0, -v22
	;; [unrolled: 1-line block ×4, first 2 shown]
	v_lshrrev_b32_e32 v5, 16, v29
	v_sub_f16_e32 v20, v28, v25
	v_lshrrev_b32_e32 v25, 16, v44
	v_sub_f16_e32 v3, v26, v24
	v_sub_f16_e32 v12, v9, v23
	v_mul_f16_sdwa v21, v5, v51 dst_sel:DWORD dst_unused:UNUSED_PAD src0_sel:DWORD src1_sel:WORD_1
	v_mul_f16_sdwa v23, v29, v51 dst_sel:DWORD dst_unused:UNUSED_PAD src0_sel:DWORD src1_sel:WORD_1
	v_lshrrev_b32_e32 v24, 16, v30
	v_fma_f16 v15, v26, 2.0, -v3
	v_mul_f16_sdwa v46, v44, v52 dst_sel:DWORD dst_unused:UNUSED_PAD src0_sel:DWORD src1_sel:WORD_1
	v_fma_f16 v21, v29, v51, -v21
	v_fmac_f16_e32 v23, v5, v51
	v_mul_f16_sdwa v5, v30, v50 dst_sel:DWORD dst_unused:UNUSED_PAD src0_sel:DWORD src1_sel:WORD_1
	v_mul_f16_sdwa v26, v24, v50 dst_sel:DWORD dst_unused:UNUSED_PAD src0_sel:DWORD src1_sel:WORD_1
	v_mul_f16_sdwa v29, v25, v52 dst_sel:DWORD dst_unused:UNUSED_PAD src0_sel:DWORD src1_sel:WORD_1
	v_mad_u16 v13, v64, 28, v65
	v_lshrrev_b32_e32 v64, 16, v27
	v_fmac_f16_e32 v5, v24, v50
	v_fma_f16 v24, v30, v50, -v26
	v_fma_f16 v26, v44, v52, -v29
	v_fmac_f16_e32 v46, v25, v52
	v_fma_f16 v25, v28, 2.0, -v20
	v_sub_f16_e32 v21, v27, v21
	v_sub_f16_e32 v23, v64, v23
	;; [unrolled: 1-line block ×4, first 2 shown]
	v_add_f16_e32 v22, v2, v22
	v_fma_f16 v27, v27, 2.0, -v21
	v_fma_f16 v29, v64, 2.0, -v23
	;; [unrolled: 1-line block ×4, first 2 shown]
	v_lshlrev_b32_sdwa v147, v10, v13 dst_sel:DWORD dst_unused:UNUSED_PAD src0_sel:DWORD src1_sel:WORD_0
	v_fma_f16 v9, v9, 2.0, -v12
	v_fma_f16 v2, v2, 2.0, -v22
	v_sub_f16_e32 v13, v27, v24
	v_sub_f16_e32 v5, v29, v5
	v_pack_b32_f16 v3, v3, v12
	v_pack_b32_f16 v12, v20, v22
	v_lshrrev_b32_e32 v24, 16, v31
	v_fma_f16 v20, v27, 2.0, -v13
	v_fma_f16 v22, v29, 2.0, -v5
	v_lshrrev_b32_e32 v27, 16, v45
	v_pack_b32_f16 v2, v25, v2
	v_sub_f16_e32 v25, v21, v28
	v_lshrrev_b32_e32 v29, 16, v58
	v_pack_b32_f16 v20, v20, v22
	v_mul_f16_sdwa v22, v24, v47 dst_sel:DWORD dst_unused:UNUSED_PAD src0_sel:DWORD src1_sel:WORD_1
	v_mul_f16_sdwa v28, v27, v49 dst_sel:DWORD dst_unused:UNUSED_PAD src0_sel:DWORD src1_sel:WORD_1
	v_add_f16_e32 v26, v23, v26
	v_mul_f16_sdwa v30, v58, v48 dst_sel:DWORD dst_unused:UNUSED_PAD src0_sel:DWORD src1_sel:WORD_1
	v_mul_f16_sdwa v44, v29, v48 dst_sel:DWORD dst_unused:UNUSED_PAD src0_sel:DWORD src1_sel:WORD_1
	v_fma_f16 v22, v31, v47, -v22
	v_mul_f16_sdwa v31, v31, v47 dst_sel:DWORD dst_unused:UNUSED_PAD src0_sel:DWORD src1_sel:WORD_1
	v_fma_f16 v28, v45, v49, -v28
	v_mul_f16_sdwa v45, v45, v49 dst_sel:DWORD dst_unused:UNUSED_PAD src0_sel:DWORD src1_sel:WORD_1
	v_fma_f16 v21, v21, 2.0, -v25
	v_fma_f16 v23, v23, 2.0, -v26
	v_fmac_f16_e32 v30, v29, v48
	v_lshrrev_b32_e32 v29, 16, v56
	v_fmac_f16_e32 v31, v24, v47
	v_fma_f16 v24, v58, v48, -v44
	v_fmac_f16_e32 v45, v27, v49
	v_pack_b32_f16 v9, v15, v9
	v_mad_u16 v15, v66, 28, v67
	v_pack_b32_f16 v21, v21, v23
	v_sub_f16_e32 v23, v29, v30
	v_sub_f16_e32 v27, v22, v28
	;; [unrolled: 1-line block ×4, first 2 shown]
	v_lshlrev_b32_sdwa v149, v10, v15 dst_sel:DWORD dst_unused:UNUSED_PAD src0_sel:DWORD src1_sel:WORD_0
	v_fma_f16 v15, v29, 2.0, -v23
	v_fma_f16 v22, v22, 2.0, -v27
	;; [unrolled: 1-line block ×4, first 2 shown]
	ds_write2_b32 v147, v9, v2 offset1:7
	ds_write2_b32 v147, v3, v12 offset0:14 offset1:21
	ds_write2_b32 v149, v20, v21 offset1:7
	v_sub_f16_e32 v9, v24, v28
	v_add_f16_e32 v12, v23, v27
	v_sub_f16_e32 v2, v29, v22
	v_sub_f16_e32 v3, v15, v30
	v_pack_b32_f16 v5, v13, v5
	v_fma_f16 v20, v24, 2.0, -v9
	v_fma_f16 v21, v23, 2.0, -v12
	v_fma_f16 v13, v29, 2.0, -v2
	v_fma_f16 v15, v15, 2.0, -v3
	v_mad_u16 v22, v68, 28, v69
	v_pack_b32_f16 v23, v25, v26
	v_pack_b32_f16 v20, v20, v21
	;; [unrolled: 1-line block ×4, first 2 shown]
	v_lshrrev_b32_e32 v15, 16, v59
	v_lshlrev_b32_sdwa v148, v10, v22 dst_sel:DWORD dst_unused:UNUSED_PAD src0_sel:DWORD src1_sel:WORD_0
	v_pack_b32_f16 v3, v9, v12
	ds_write2_b32 v149, v5, v23 offset0:14 offset1:21
	ds_write2_b32 v148, v13, v20 offset1:7
	v_mul_f16_sdwa v9, v15, v42 dst_sel:DWORD dst_unused:UNUSED_PAD src0_sel:DWORD src1_sel:WORD_1
	v_lshrrev_b32_e32 v5, 16, v60
	ds_write2_b32 v148, v2, v3 offset0:14 offset1:21
	v_mul_f16_sdwa v13, v59, v42 dst_sel:DWORD dst_unused:UNUSED_PAD src0_sel:DWORD src1_sel:WORD_1
	v_lshrrev_b32_e32 v20, 16, v14
	v_fma_f16 v2, v59, v42, -v9
	v_mul_f16_sdwa v9, v60, v41 dst_sel:DWORD dst_unused:UNUSED_PAD src0_sel:DWORD src1_sel:WORD_1
	v_mul_f16_sdwa v12, v5, v41 dst_sel:DWORD dst_unused:UNUSED_PAD src0_sel:DWORD src1_sel:WORD_1
	;; [unrolled: 1-line block ×4, first 2 shown]
	v_fmac_f16_e32 v13, v15, v42
	v_fmac_f16_e32 v9, v5, v41
	v_fma_f16 v5, v60, v41, -v12
	v_lshrrev_b32_e32 v12, 16, v62
	v_lshrrev_b32_e32 v15, 16, v57
	;; [unrolled: 1-line block ×4, first 2 shown]
	v_mul_f16_sdwa v24, v61, v35 dst_sel:DWORD dst_unused:UNUSED_PAD src0_sel:DWORD src1_sel:WORD_1
	v_mul_f16_sdwa v25, v12, v43 dst_sel:DWORD dst_unused:UNUSED_PAD src0_sel:DWORD src1_sel:WORD_1
	v_fmac_f16_e32 v27, v12, v43
	v_fma_f16 v22, v14, v36, -v22
	v_mul_f16_sdwa v14, v14, v36 dst_sel:DWORD dst_unused:UNUSED_PAD src0_sel:DWORD src1_sel:WORD_1
	v_mul_f16_sdwa v12, v63, v37 dst_sel:DWORD dst_unused:UNUSED_PAD src0_sel:DWORD src1_sel:WORD_1
	v_fma_f16 v25, v62, v43, -v25
	v_sub_f16_e32 v2, v57, v2
	v_sub_f16_e32 v13, v15, v13
	;; [unrolled: 1-line block ×3, first 2 shown]
	v_mul_f16_sdwa v21, v3, v35 dst_sel:DWORD dst_unused:UNUSED_PAD src0_sel:DWORD src1_sel:WORD_1
	v_sub_f16_e32 v25, v5, v25
	v_mul_f16_sdwa v26, v23, v37 dst_sel:DWORD dst_unused:UNUSED_PAD src0_sel:DWORD src1_sel:WORD_1
	v_fmac_f16_e32 v24, v3, v35
	v_fma_f16 v3, v57, 2.0, -v2
	v_fma_f16 v15, v15, 2.0, -v13
	;; [unrolled: 1-line block ×4, first 2 shown]
	v_fmac_f16_e32 v14, v20, v36
	v_fmac_f16_e32 v12, v23, v37
	v_sub_f16_e32 v20, v8, v22
	v_sub_f16_e32 v22, v2, v27
	v_add_f16_e32 v23, v13, v25
	v_fma_f16 v21, v61, v35, -v21
	v_fma_f16 v26, v63, v37, -v26
	v_sub_f16_e32 v5, v3, v5
	v_sub_f16_e32 v9, v15, v9
	v_lshrrev_b32_e32 v25, 16, v8
	v_fma_f16 v2, v2, 2.0, -v22
	v_fma_f16 v13, v13, 2.0, -v23
	;; [unrolled: 1-line block ×5, first 2 shown]
	v_sub_f16_e32 v12, v24, v12
	v_pack_b32_f16 v2, v2, v13
	v_sub_f16_e32 v13, v25, v14
	v_sub_f16_e32 v14, v21, v26
	v_lshrrev_b16 v8, 8, v1
	v_pack_b32_f16 v3, v3, v15
	v_pack_b32_f16 v15, v5, v9
	v_fma_f16 v1, v25, 2.0, -v13
	v_fma_f16 v5, v21, 2.0, -v14
	;; [unrolled: 1-line block ×3, first 2 shown]
	v_mul_lo_u16 v7, v8, 28
	v_pack_b32_f16 v21, v22, v23
	v_sub_f16_e32 v12, v20, v12
	v_sub_f16_e32 v5, v27, v5
	;; [unrolled: 1-line block ×3, first 2 shown]
	v_sub_nc_u16 v0, v0, v7
	v_add_f16_e32 v14, v13, v14
	v_mad_u16 v28, v70, 28, v72
	v_fma_f16 v7, v27, 2.0, -v5
	v_fma_f16 v1, v1, 2.0, -v22
	v_and_b32_e32 v9, 0xff, v0
	v_fma_f16 v20, v20, 2.0, -v12
	v_fma_f16 v13, v13, 2.0, -v14
	v_lshlrev_b32_sdwa v154, v10, v28 dst_sel:DWORD dst_unused:UNUSED_PAD src0_sel:DWORD src1_sel:WORD_0
	v_pack_b32_f16 v1, v7, v1
	v_pack_b32_f16 v7, v5, v22
	v_mad_u64_u32 v[5:6], null, v9, 24, s[2:3]
	v_pack_b32_f16 v0, v20, v13
	v_pack_b32_f16 v12, v12, v14
	ds_write2_b32 v154, v3, v2 offset1:7
	ds_write2_b32 v154, v15, v21 offset0:14 offset1:21
	ds_write2_b32 v153, v1, v0 offset1:7
	ds_write2_b32 v153, v7, v12 offset0:14 offset1:21
	s_waitcnt lgkmcnt(0)
	s_barrier
	buffer_gl0_inv
	s_clause 0x1
	global_load_dwordx4 v[0:3], v[5:6], off offset:84
	global_load_dwordx2 v[72:73], v[5:6], off offset:100
	v_lshrrev_b16 v5, 2, v4
	v_mov_b32_e32 v12, 0x4925
	v_lshrrev_b16 v24, 2, v11
	v_mul_u32_u24_sdwa v5, v5, v12 dst_sel:DWORD dst_unused:UNUSED_PAD src0_sel:WORD_0 src1_sel:DWORD
	v_lshrrev_b32_e32 v26, 17, v5
	v_mul_lo_u16 v5, v26, 28
	v_sub_nc_u16 v27, v4, v5
	v_mul_lo_u16 v4, v27, 24
	v_mad_u16 v26, 0xc4, v26, v27
	v_and_b32_e32 v4, 0xffff, v4
	v_add_co_u32 v4, s0, s2, v4
	v_add_co_ci_u32_e64 v5, null, s3, 0, s0
	s_clause 0x1
	global_load_dwordx4 v[20:23], v[4:5], off offset:84
	global_load_dwordx2 v[80:81], v[4:5], off offset:100
	v_mul_u32_u24_sdwa v4, v24, v12 dst_sel:DWORD dst_unused:UNUSED_PAD src0_sel:WORD_0 src1_sel:DWORD
	v_lshrrev_b32_e32 v31, 17, v4
	v_mul_lo_u16 v4, v31, 28
	v_sub_nc_u16 v46, v11, v4
	v_mul_lo_u16 v4, v46, 24
	v_and_b32_e32 v4, 0xffff, v4
	v_add_co_u32 v13, s0, s2, v4
	v_add_co_ci_u32_e64 v14, null, s3, 0, s0
	s_clause 0x1
	global_load_dwordx4 v[4:7], v[13:14], off offset:84
	global_load_dwordx2 v[78:79], v[13:14], off offset:100
	ds_read2_b32 v[29:30], v132 offset0:16 offset1:212
	ds_read2_b32 v[44:45], v125 offset0:32 offset1:228
	;; [unrolled: 1-line block ×5, first 2 shown]
	ds_read2_b32 v[62:63], v129 offset1:196
	ds_read2_b32 v[64:65], v124 offset1:196
	s_waitcnt lgkmcnt(6)
	v_lshrrev_b32_e32 v13, 16, v29
	s_waitcnt lgkmcnt(5)
	v_lshrrev_b32_e32 v14, 16, v44
	s_waitcnt vmcnt(5)
	v_mul_f16_sdwa v15, v29, v0 dst_sel:DWORD dst_unused:UNUSED_PAD src0_sel:DWORD src1_sel:WORD_1
	v_mul_f16_sdwa v25, v13, v0 dst_sel:DWORD dst_unused:UNUSED_PAD src0_sel:DWORD src1_sel:WORD_1
	s_waitcnt vmcnt(4)
	v_mul_f16_sdwa v28, v14, v73 dst_sel:DWORD dst_unused:UNUSED_PAD src0_sel:DWORD src1_sel:WORD_1
	v_mul_f16_sdwa v66, v44, v73 dst_sel:DWORD dst_unused:UNUSED_PAD src0_sel:DWORD src1_sel:WORD_1
	s_waitcnt lgkmcnt(3)
	v_mul_f16_sdwa v67, v58, v72 dst_sel:DWORD dst_unused:UNUSED_PAD src0_sel:DWORD src1_sel:WORD_1
	v_fmac_f16_e32 v15, v13, v0
	v_fma_f16 v25, v29, v0, -v25
	v_fma_f16 v28, v44, v73, -v28
	v_fmac_f16_e32 v66, v14, v73
	v_lshrrev_b32_e32 v13, 16, v56
	v_mul_f16_sdwa v14, v56, v1 dst_sel:DWORD dst_unused:UNUSED_PAD src0_sel:DWORD src1_sel:WORD_1
	s_waitcnt lgkmcnt(2)
	v_lshrrev_b32_e32 v29, 16, v60
	v_add_f16_e32 v44, v25, v28
	v_sub_f16_e32 v70, v25, v28
	v_lshrrev_b32_e32 v25, 16, v58
	v_fmac_f16_e32 v14, v13, v1
	v_mul_f16_sdwa v13, v13, v1 dst_sel:DWORD dst_unused:UNUSED_PAD src0_sel:DWORD src1_sel:WORD_1
	v_mul_f16_sdwa v68, v60, v2 dst_sel:DWORD dst_unused:UNUSED_PAD src0_sel:DWORD src1_sel:WORD_1
	s_waitcnt lgkmcnt(1)
	v_mul_f16_sdwa v69, v62, v3 dst_sel:DWORD dst_unused:UNUSED_PAD src0_sel:DWORD src1_sel:WORD_1
	v_mul_f16_sdwa v28, v25, v72 dst_sel:DWORD dst_unused:UNUSED_PAD src0_sel:DWORD src1_sel:WORD_1
	v_fmac_f16_e32 v67, v25, v72
	v_fma_f16 v13, v56, v1, -v13
	v_lshrrev_b32_e32 v56, 16, v62
	v_lshrrev_b16 v25, 2, v16
	v_fma_f16 v58, v58, v72, -v28
	v_fmac_f16_e32 v68, v29, v2
	v_mul_f16_sdwa v28, v29, v2 dst_sel:DWORD dst_unused:UNUSED_PAD src0_sel:DWORD src1_sel:WORD_1
	v_mul_f16_sdwa v29, v56, v3 dst_sel:DWORD dst_unused:UNUSED_PAD src0_sel:DWORD src1_sel:WORD_1
	v_mul_u32_u24_sdwa v12, v25, v12 dst_sel:DWORD dst_unused:UNUSED_PAD src0_sel:WORD_0 src1_sel:DWORD
	v_fmac_f16_e32 v69, v56, v3
	v_add_f16_e32 v56, v13, v58
	v_fma_f16 v60, v60, v2, -v28
	v_fma_f16 v62, v62, v3, -v29
	v_lshrrev_b32_e32 v28, 17, v12
	v_sub_f16_e32 v58, v13, v58
	v_add_f16_e32 v29, v56, v44
	v_add_f16_e32 v150, v15, v66
	;; [unrolled: 1-line block ×3, first 2 shown]
	v_mul_lo_u16 v75, v28, 28
	v_add_f16_e32 v152, v14, v67
	v_sub_f16_e32 v156, v14, v67
	v_add_f16_e32 v74, v68, v69
	v_add_f16_e32 v13, v12, v29
	v_sub_nc_u16 v29, v16, v75
	v_add_f16_e32 v82, v152, v150
	v_sub_f16_e32 v155, v15, v66
	v_sub_f16_e32 v60, v62, v60
	s_waitcnt lgkmcnt(0)
	v_add_f16_e32 v83, v64, v13
	v_mul_lo_u16 v14, v29, 24
	v_add_f16_e32 v15, v74, v82
	v_sub_f16_e32 v62, v69, v68
	v_sub_f16_e32 v68, v44, v12
	v_fmamk_f16 v157, v13, 0xbcab, v83
	v_and_b32_e32 v13, 0xffff, v14
	v_add_f16_sdwa v64, v64, v15 dst_sel:DWORD dst_unused:UNUSED_PAD src0_sel:WORD_1 src1_sel:DWORD
	v_sub_f16_e32 v159, v12, v56
	v_sub_f16_e32 v69, v150, v74
	;; [unrolled: 1-line block ×3, first 2 shown]
	v_add_co_u32 v66, s0, s2, v13
	v_add_co_ci_u32_e64 v67, null, s3, 0, s0
	v_fmamk_f16 v158, v15, 0xbcab, v64
	v_add_f16_e32 v74, v60, v58
	v_sub_f16_e32 v75, v60, v58
	global_load_dwordx4 v[12:15], v[66:67], off offset:84
	v_sub_f16_e32 v85, v62, v156
	v_sub_f16_e32 v60, v70, v60
	v_add_f16_e32 v161, v74, v70
	v_mul_f16_e32 v165, 0xb846, v75
	global_load_dwordx2 v[74:75], v[66:67], off offset:100
	v_add_f16_e32 v84, v62, v156
	v_sub_f16_e32 v62, v155, v62
	v_mul_f16_e32 v162, 0x3a52, v68
	v_mul_f16_e32 v163, 0x3a52, v69
	;; [unrolled: 1-line block ×3, first 2 shown]
	v_sub_f16_e32 v150, v152, v150
	v_sub_f16_e32 v58, v58, v70
	;; [unrolled: 1-line block ×3, first 2 shown]
	v_add_f16_e32 v166, v84, v155
	v_fmamk_f16 v68, v159, 0x2b26, v162
	v_fmamk_f16 v69, v160, 0x2b26, v163
	;; [unrolled: 1-line block ×4, first 2 shown]
	v_sub_f16_e32 v44, v56, v44
	v_mul_f16_e32 v56, 0x2b26, v159
	v_mul_f16_e32 v70, 0x2b26, v160
	;; [unrolled: 1-line block ×4, first 2 shown]
	v_mov_b32_e32 v82, 0xc4
	v_add_f16_e32 v169, v68, v157
	v_add_f16_e32 v170, v69, v158
	v_fmac_f16_e32 v167, 0x370e, v166
	v_fmac_f16_e32 v168, 0x370e, v161
	v_fma_f16 v56, v44, 0x39e0, -v56
	v_fma_f16 v44, v44, 0xb9e0, -v162
	;; [unrolled: 1-line block ×5, first 2 shown]
	v_fmac_f16_e32 v155, 0xb574, v60
	v_fma_f16 v60, v152, 0x3b00, -v164
	v_fmac_f16_e32 v156, 0xb574, v62
	v_mul_u32_u24_sdwa v8, v8, v82 dst_sel:DWORD dst_unused:UNUSED_PAD src0_sel:WORD_0 src1_sel:DWORD
	v_add_f16_e32 v66, v167, v169
	v_sub_f16_e32 v67, v170, v168
	v_add_f16_e32 v56, v56, v157
	v_add_f16_e32 v44, v44, v157
	;; [unrolled: 1-line block ×4, first 2 shown]
	v_fmac_f16_e32 v156, 0x370e, v166
	v_fmac_f16_e32 v155, 0x370e, v161
	;; [unrolled: 1-line block ×4, first 2 shown]
	v_add_lshl_u32 v146, v8, v9, 2
	v_pack_b32_f16 v64, v83, v64
	v_pack_b32_f16 v171, v66, v67
	v_add_f16_e32 v150, v156, v44
	v_sub_f16_e32 v152, v70, v155
	v_sub_f16_e32 v157, v56, v60
	v_add_f16_e32 v158, v58, v62
	v_lshrrev_b32_e32 v159, 16, v30
	ds_read2_b32 v[8:9], v114 offset0:8 offset1:204
	ds_read2_b32 v[66:67], v112 offset0:24 offset1:220
	;; [unrolled: 1-line block ×7, first 2 shown]
	s_waitcnt vmcnt(0) lgkmcnt(0)
	s_barrier
	buffer_gl0_inv
	v_pack_b32_f16 v150, v150, v152
	v_pack_b32_f16 v152, v157, v158
	v_lshrrev_b32_e32 v157, 16, v57
	ds_write2_b32 v146, v64, v171 offset1:28
	v_mul_f16_sdwa v64, v159, v20 dst_sel:DWORD dst_unused:UNUSED_PAD src0_sel:DWORD src1_sel:WORD_1
	v_lshrrev_b32_e32 v160, 16, v59
	v_mul_f16_sdwa v158, v30, v20 dst_sel:DWORD dst_unused:UNUSED_PAD src0_sel:DWORD src1_sel:WORD_1
	ds_write2_b32 v146, v150, v152 offset0:56 offset1:84
	v_mul_f16_sdwa v150, v157, v21 dst_sel:DWORD dst_unused:UNUSED_PAD src0_sel:DWORD src1_sel:WORD_1
	v_lshrrev_b32_e32 v152, 16, v61
	v_fma_f16 v30, v30, v20, -v64
	v_lshrrev_b32_e32 v64, 16, v63
	v_lshrrev_b32_e32 v162, 16, v45
	v_mul_f16_sdwa v163, v160, v80 dst_sel:DWORD dst_unused:UNUSED_PAD src0_sel:DWORD src1_sel:WORD_1
	v_fmac_f16_e32 v158, v159, v20
	v_fma_f16 v150, v57, v21, -v150
	v_mul_f16_sdwa v159, v152, v22 dst_sel:DWORD dst_unused:UNUSED_PAD src0_sel:DWORD src1_sel:WORD_1
	v_mul_f16_sdwa v57, v57, v21 dst_sel:DWORD dst_unused:UNUSED_PAD src0_sel:DWORD src1_sel:WORD_1
	;; [unrolled: 1-line block ×4, first 2 shown]
	v_fma_f16 v163, v59, v80, -v163
	v_mul_f16_sdwa v165, v45, v81 dst_sel:DWORD dst_unused:UNUSED_PAD src0_sel:DWORD src1_sel:WORD_1
	v_mul_f16_sdwa v59, v59, v80 dst_sel:DWORD dst_unused:UNUSED_PAD src0_sel:DWORD src1_sel:WORD_1
	v_fma_f16 v159, v61, v22, -v159
	v_mul_f16_sdwa v61, v61, v22 dst_sel:DWORD dst_unused:UNUSED_PAD src0_sel:DWORD src1_sel:WORD_1
	v_fma_f16 v161, v63, v23, -v161
	;; [unrolled: 2-line block ×3, first 2 shown]
	v_fmac_f16_e32 v57, v157, v21
	v_fmac_f16_e32 v165, v162, v81
	;; [unrolled: 1-line block ×5, first 2 shown]
	v_add_f16_e32 v64, v30, v45
	v_add_f16_e32 v152, v150, v163
	;; [unrolled: 1-line block ×9, first 2 shown]
	v_sub_f16_e32 v58, v62, v58
	v_add_f16_e32 v62, v155, v70
	v_add_f16_e32 v70, v60, v162
	v_sub_f16_e32 v44, v44, v156
	v_add_f16_e32 v155, v164, v166
	v_sub_f16_e32 v156, v150, v163
	v_sub_f16_e32 v30, v30, v45
	v_add_f16_e32 v150, v65, v70
	v_sub_f16_e32 v45, v158, v165
	v_add_f16_sdwa v65, v65, v155 dst_sel:DWORD dst_unused:UNUSED_PAD src0_sel:WORD_1 src1_sel:DWORD
	v_sub_f16_e32 v61, v63, v61
	v_sub_f16_e32 v158, v157, v164
	v_fmamk_f16 v63, v70, 0xbcab, v150
	v_sub_f16_e32 v57, v57, v59
	v_fmamk_f16 v70, v155, 0xbcab, v65
	v_sub_f16_e32 v155, v64, v60
	v_sub_f16_e32 v59, v161, v159
	;; [unrolled: 1-line block ×4, first 2 shown]
	v_mul_f16_e32 v158, 0x3a52, v158
	v_mul_f16_e32 v155, 0x3a52, v155
	v_add_f16_e32 v161, v59, v156
	v_sub_f16_e32 v162, v59, v156
	v_add_f16_e32 v163, v61, v57
	v_sub_f16_e32 v164, v61, v57
	v_fmamk_f16 v165, v60, 0x2b26, v155
	v_fmamk_f16 v166, v159, 0x2b26, v158
	v_sub_f16_e32 v59, v30, v59
	v_sub_f16_e32 v61, v45, v61
	v_add_f16_e32 v161, v161, v30
	v_mul_f16_e32 v164, 0xb846, v164
	v_mul_f16_e32 v162, 0xb846, v162
	v_add_f16_e32 v163, v163, v45
	v_pack_b32_f16 v56, v56, v58
	v_add_f16_e32 v58, v165, v63
	v_add_f16_e32 v165, v166, v70
	v_pack_b32_f16 v44, v44, v62
	v_sub_f16_e32 v62, v169, v167
	v_add_f16_e32 v166, v168, v170
	v_sub_f16_e32 v30, v156, v30
	v_sub_f16_e32 v45, v57, v45
	v_fmamk_f16 v171, v61, 0x3574, v164
	v_fmamk_f16 v172, v59, 0x3574, v162
	ds_write2_b32 v146, v56, v44 offset0:112 offset1:140
	v_pack_b32_f16 v27, v62, v166
	v_pack_b32_f16 v44, v150, v65
	v_lshlrev_b32_sdwa v150, v10, v26 dst_sel:DWORD dst_unused:UNUSED_PAD src0_sel:DWORD src1_sel:WORD_0
	v_sub_f16_e32 v26, v152, v64
	v_mul_f16_e32 v60, 0x2b26, v60
	v_sub_f16_e32 v62, v160, v157
	v_mul_f16_e32 v57, 0x2b26, v159
	v_mul_f16_e32 v64, 0xbb00, v30
	;; [unrolled: 1-line block ×3, first 2 shown]
	v_fmac_f16_e32 v171, 0x370e, v163
	v_fmac_f16_e32 v172, 0x370e, v161
	v_fma_f16 v60, v26, 0x39e0, -v60
	v_fma_f16 v26, v26, 0xb9e0, -v155
	v_fma_f16 v57, v62, 0x39e0, -v57
	v_fma_f16 v62, v62, 0xb9e0, -v158
	v_fmac_f16_e32 v64, 0xb574, v59
	v_fmac_f16_e32 v65, 0xb574, v61
	v_add_f16_e32 v167, v171, v58
	v_sub_f16_e32 v168, v165, v172
	v_fma_f16 v30, v30, 0x3b00, -v162
	v_fma_f16 v45, v45, 0x3b00, -v164
	v_add_f16_e32 v59, v60, v63
	v_add_f16_e32 v26, v26, v63
	;; [unrolled: 1-line block ×3, first 2 shown]
	v_fmac_f16_e32 v65, 0x370e, v163
	v_fmac_f16_e32 v64, 0x370e, v161
	v_pack_b32_f16 v56, v167, v168
	v_add_f16_e32 v57, v57, v70
	v_fmac_f16_e32 v45, 0x370e, v163
	v_fmac_f16_e32 v30, 0x370e, v161
	v_add_f16_e32 v61, v65, v26
	v_sub_f16_e32 v62, v60, v64
	ds_write_b32 v146, v27 offset:672
	v_sub_f16_e32 v27, v59, v45
	v_add_f16_e32 v63, v30, v57
	ds_write2_b32 v150, v44, v56 offset1:28
	v_pack_b32_f16 v44, v61, v62
	v_lshrrev_b32_e32 v56, 16, v66
	v_lshrrev_b32_e32 v61, 16, v88
	v_pack_b32_f16 v27, v27, v63
	v_mul_f16_sdwa v62, v66, v4 dst_sel:DWORD dst_unused:UNUSED_PAD src0_sel:DWORD src1_sel:WORD_1
	v_mul_f16_sdwa v63, v88, v79 dst_sel:DWORD dst_unused:UNUSED_PAD src0_sel:DWORD src1_sel:WORD_1
	;; [unrolled: 1-line block ×4, first 2 shown]
	v_add_f16_e32 v45, v45, v59
	v_fmac_f16_e32 v62, v56, v4
	v_fmac_f16_e32 v63, v61, v79
	v_fma_f16 v56, v66, v4, -v70
	v_fma_f16 v59, v88, v79, -v152
	v_lshrrev_b32_e32 v61, 16, v68
	v_mul_f16_sdwa v66, v68, v5 dst_sel:DWORD dst_unused:UNUSED_PAD src0_sel:DWORD src1_sel:WORD_1
	v_lshrrev_b32_e32 v70, 16, v86
	v_mul_f16_sdwa v88, v86, v78 dst_sel:DWORD dst_unused:UNUSED_PAD src0_sel:DWORD src1_sel:WORD_1
	v_lshrrev_b32_e32 v156, 16, v82
	v_lshrrev_b32_e32 v157, 16, v84
	v_fmac_f16_e32 v66, v61, v5
	v_mul_f16_sdwa v61, v61, v5 dst_sel:DWORD dst_unused:UNUSED_PAD src0_sel:DWORD src1_sel:WORD_1
	v_fmac_f16_e32 v88, v70, v78
	v_mul_f16_sdwa v70, v70, v78 dst_sel:DWORD dst_unused:UNUSED_PAD src0_sel:DWORD src1_sel:WORD_1
	v_mul_f16_sdwa v158, v156, v6 dst_sel:DWORD dst_unused:UNUSED_PAD src0_sel:DWORD src1_sel:WORD_1
	;; [unrolled: 1-line block ×3, first 2 shown]
	v_fma_f16 v61, v68, v5, -v61
	v_mul_f16_sdwa v68, v82, v6 dst_sel:DWORD dst_unused:UNUSED_PAD src0_sel:DWORD src1_sel:WORD_1
	v_mul_f16_sdwa v160, v84, v7 dst_sel:DWORD dst_unused:UNUSED_PAD src0_sel:DWORD src1_sel:WORD_1
	v_fma_f16 v70, v86, v78, -v70
	v_add_f16_e32 v152, v56, v59
	v_add_f16_e32 v155, v62, v63
	v_fmac_f16_e32 v68, v156, v6
	v_fma_f16 v82, v82, v6, -v158
	v_fma_f16 v84, v84, v7, -v159
	v_fmac_f16_e32 v160, v157, v7
	v_add_f16_e32 v86, v61, v70
	v_add_f16_e32 v156, v66, v88
	v_sub_f16_e32 v30, v57, v30
	v_add_f16_e32 v57, v82, v84
	v_add_f16_e32 v157, v68, v160
	;; [unrolled: 1-line block ×4, first 2 shown]
	v_sub_f16_e32 v26, v26, v65
	v_sub_f16_e32 v56, v56, v59
	;; [unrolled: 1-line block ×7, first 2 shown]
	v_add_f16_e32 v60, v64, v60
	v_pack_b32_f16 v30, v45, v30
	v_add_f16_e32 v45, v57, v158
	v_add_f16_e32 v64, v157, v159
	v_sub_f16_e32 v68, v152, v57
	v_sub_f16_e32 v70, v155, v157
	;; [unrolled: 1-line block ×4, first 2 shown]
	v_add_f16_e32 v62, v8, v45
	v_add_f16_sdwa v8, v8, v64 dst_sel:DWORD dst_unused:UNUSED_PAD src0_sel:WORD_1 src1_sel:DWORD
	v_sub_f16_e32 v57, v57, v86
	v_sub_f16_e32 v82, v157, v156
	v_add_f16_e32 v84, v65, v61
	v_sub_f16_e32 v65, v56, v65
	v_add_f16_e32 v157, v66, v63
	v_sub_f16_e32 v66, v59, v66
	v_mul_f16_e32 v68, 0x3a52, v68
	v_mul_f16_e32 v70, 0x3a52, v70
	;; [unrolled: 1-line block ×4, first 2 shown]
	v_fmamk_f16 v45, v45, 0xbcab, v62
	v_fmamk_f16 v64, v64, 0xbcab, v8
	v_add_f16_e32 v84, v84, v56
	v_add_f16_e32 v157, v157, v59
	v_fmamk_f16 v159, v57, 0x2b26, v68
	v_fmamk_f16 v160, v82, 0x2b26, v70
	;; [unrolled: 1-line block ×4, first 2 shown]
	v_pack_b32_f16 v26, v26, v60
	v_add_f16_e32 v60, v159, v45
	v_add_f16_e32 v159, v160, v64
	v_fmac_f16_e32 v161, 0x370e, v157
	v_fmac_f16_e32 v162, 0x370e, v84
	v_sub_f16_e32 v58, v58, v171
	v_add_f16_e32 v160, v172, v165
	ds_write2_b32 v150, v44, v27 offset0:56 offset1:84
	v_add_f16_e32 v27, v161, v60
	v_sub_f16_e32 v44, v159, v162
	ds_write2_b32 v150, v30, v26 offset0:112 offset1:140
	v_pack_b32_f16 v26, v58, v160
	v_sub_f16_e32 v56, v61, v56
	v_sub_f16_e32 v58, v63, v59
	v_mad_u16 v30, 0xc4, v31, v46
	v_pack_b32_f16 v27, v27, v44
	v_sub_f16_e32 v31, v86, v152
	v_mul_f16_e32 v44, 0x2b26, v57
	v_sub_f16_e32 v46, v156, v155
	v_mul_f16_e32 v57, 0x2b26, v82
	v_mul_f16_e32 v59, 0xbb00, v56
	;; [unrolled: 1-line block ×3, first 2 shown]
	v_fma_f16 v44, v31, 0x39e0, -v44
	v_fma_f16 v31, v31, 0xb9e0, -v68
	v_fma_f16 v57, v46, 0x39e0, -v57
	v_fma_f16 v46, v46, 0xb9e0, -v70
	v_fma_f16 v56, v56, 0x3b00, -v88
	v_fmac_f16_e32 v59, 0xb574, v65
	v_fma_f16 v58, v58, 0x3b00, -v158
	v_fmac_f16_e32 v61, 0xb574, v66
	v_add_f16_e32 v44, v44, v45
	v_add_f16_e32 v31, v31, v45
	;; [unrolled: 1-line block ×4, first 2 shown]
	v_fmac_f16_e32 v61, 0x370e, v157
	v_fmac_f16_e32 v59, 0x370e, v84
	;; [unrolled: 1-line block ×4, first 2 shown]
	v_pack_b32_f16 v8, v62, v8
	v_lshlrev_b32_sdwa v152, v10, v30 dst_sel:DWORD dst_unused:UNUSED_PAD src0_sel:DWORD src1_sel:WORD_0
	v_add_f16_e32 v30, v61, v31
	v_sub_f16_e32 v57, v46, v59
	v_sub_f16_e32 v62, v44, v58
	v_add_f16_e32 v63, v56, v45
	ds_write_b32 v150, v26 offset:672
	ds_write2_b32 v152, v8, v27 offset1:28
	v_lshrrev_b32_e32 v8, 16, v67
	v_pack_b32_f16 v26, v30, v57
	v_lshrrev_b32_e32 v30, 16, v69
	v_pack_b32_f16 v27, v62, v63
	v_lshrrev_b32_e32 v62, 16, v83
	v_add_f16_e32 v44, v58, v44
	v_sub_f16_e32 v45, v45, v56
	v_lshrrev_b32_e32 v64, 16, v87
	v_sub_f16_e32 v31, v31, v61
	v_add_f16_e32 v46, v59, v46
	v_add_f16_e32 v155, v162, v159
	v_pack_b32_f16 v44, v44, v45
	v_sub_f16_e32 v45, v60, v161
	ds_write2_b32 v152, v26, v27 offset0:56 offset1:84
	v_pack_b32_f16 v31, v31, v46
	v_mad_u16 v28, 0xc4, v28, v29
	v_mul_f16_sdwa v57, v8, v12 dst_sel:DWORD dst_unused:UNUSED_PAD src0_sel:DWORD src1_sel:WORD_1
	v_mul_f16_sdwa v58, v67, v12 dst_sel:DWORD dst_unused:UNUSED_PAD src0_sel:DWORD src1_sel:WORD_1
	v_mul_f16_sdwa v56, v30, v13 dst_sel:DWORD dst_unused:UNUSED_PAD src0_sel:DWORD src1_sel:WORD_1
	v_mul_f16_sdwa v63, v62, v14 dst_sel:DWORD dst_unused:UNUSED_PAD src0_sel:DWORD src1_sel:WORD_1
	v_mul_f16_sdwa v65, v69, v13 dst_sel:DWORD dst_unused:UNUSED_PAD src0_sel:DWORD src1_sel:WORD_1
	v_fma_f16 v57, v67, v12, -v57
	v_lshrrev_b32_e32 v67, 16, v89
	v_fmac_f16_e32 v58, v8, v12
	v_lshrrev_b32_e32 v8, 16, v85
	v_fma_f16 v56, v69, v13, -v56
	v_fma_f16 v63, v83, v14, -v63
	v_mul_f16_sdwa v68, v64, v74 dst_sel:DWORD dst_unused:UNUSED_PAD src0_sel:DWORD src1_sel:WORD_1
	v_mul_f16_sdwa v69, v83, v14 dst_sel:DWORD dst_unused:UNUSED_PAD src0_sel:DWORD src1_sel:WORD_1
	;; [unrolled: 1-line block ×7, first 2 shown]
	v_fma_f16 v68, v87, v74, -v68
	v_fma_f16 v70, v89, v75, -v70
	v_fmac_f16_e32 v65, v30, v13
	v_fmac_f16_e32 v83, v67, v75
	;; [unrolled: 1-line block ×3, first 2 shown]
	v_fma_f16 v66, v85, v15, -v66
	v_fmac_f16_e32 v69, v62, v14
	v_fmac_f16_e32 v82, v8, v15
	v_add_f16_e32 v8, v57, v70
	v_add_f16_e32 v30, v56, v68
	;; [unrolled: 1-line block ×7, first 2 shown]
	v_sub_f16_e32 v56, v56, v68
	v_add_f16_e32 v86, v64, v62
	v_sub_f16_e32 v65, v65, v84
	v_sub_f16_e32 v63, v66, v63
	;; [unrolled: 1-line block ×3, first 2 shown]
	v_add_f16_e32 v59, v61, v67
	v_add_f16_e32 v60, v85, v86
	v_sub_f16_e32 v57, v57, v70
	v_sub_f16_e32 v58, v58, v83
	v_sub_f16_e32 v68, v8, v61
	v_sub_f16_e32 v69, v62, v85
	v_sub_f16_e32 v70, v85, v64
	v_sub_f16_e32 v83, v63, v56
	v_sub_f16_e32 v85, v66, v65
	v_add_f16_e32 v67, v9, v59
	v_add_f16_sdwa v9, v9, v60 dst_sel:DWORD dst_unused:UNUSED_PAD src0_sel:WORD_1 src1_sel:DWORD
	v_sub_f16_e32 v61, v61, v30
	v_add_f16_e32 v82, v63, v56
	v_sub_f16_e32 v63, v57, v63
	v_add_f16_e32 v84, v66, v65
	v_sub_f16_e32 v66, v58, v66
	v_mul_f16_e32 v68, 0x3a52, v68
	v_mul_f16_e32 v69, 0x3a52, v69
	;; [unrolled: 1-line block ×4, first 2 shown]
	v_fmamk_f16 v59, v59, 0xbcab, v67
	v_fmamk_f16 v60, v60, 0xbcab, v9
	v_add_f16_e32 v82, v82, v57
	v_add_f16_e32 v84, v84, v58
	v_fmamk_f16 v86, v61, 0x2b26, v68
	v_fmamk_f16 v87, v70, 0x2b26, v69
	;; [unrolled: 1-line block ×4, first 2 shown]
	v_pack_b32_f16 v45, v45, v155
	v_add_f16_e32 v86, v86, v59
	v_add_f16_e32 v87, v87, v60
	v_fmac_f16_e32 v88, 0x370e, v84
	v_fmac_f16_e32 v89, 0x370e, v82
	ds_write2_b32 v152, v44, v31 offset0:112 offset1:140
	ds_write_b32 v152, v45 offset:672
	v_sub_f16_e32 v8, v30, v8
	v_sub_f16_e32 v30, v56, v57
	v_add_f16_e32 v26, v88, v86
	v_sub_f16_e32 v27, v87, v89
	v_sub_f16_e32 v44, v65, v58
	v_pack_b32_f16 v29, v67, v9
	v_mul_f16_e32 v9, 0x2b26, v61
	v_mul_f16_e32 v31, 0x2b26, v70
	v_pack_b32_f16 v26, v26, v27
	v_sub_f16_e32 v27, v64, v62
	v_mul_f16_e32 v45, 0xbb00, v30
	v_mul_f16_e32 v46, 0xbb00, v44
	v_fma_f16 v9, v8, 0x39e0, -v9
	v_fma_f16 v8, v8, 0xb9e0, -v68
	v_fma_f16 v31, v27, 0x39e0, -v31
	v_fma_f16 v27, v27, 0xb9e0, -v69
	v_fma_f16 v30, v30, 0x3b00, -v83
	v_fmac_f16_e32 v45, 0xb574, v63
	v_fma_f16 v44, v44, 0x3b00, -v85
	v_fmac_f16_e32 v46, 0xb574, v66
	v_add_f16_e32 v9, v9, v59
	v_add_f16_e32 v8, v8, v59
	;; [unrolled: 1-line block ×4, first 2 shown]
	v_fmac_f16_e32 v46, 0x370e, v84
	v_fmac_f16_e32 v45, 0x370e, v82
	;; [unrolled: 1-line block ×4, first 2 shown]
	v_lshlrev_b32_sdwa v155, v10, v28 dst_sel:DWORD dst_unused:UNUSED_PAD src0_sel:DWORD src1_sel:WORD_0
	v_add_f16_e32 v28, v46, v8
	v_sub_f16_e32 v56, v27, v45
	v_sub_f16_e32 v57, v9, v44
	v_add_f16_e32 v58, v30, v31
	v_add_f16_e32 v9, v44, v9
	v_sub_f16_e32 v30, v31, v30
	v_sub_f16_e32 v8, v8, v46
	v_add_f16_e32 v27, v45, v27
	v_sub_f16_e32 v31, v86, v88
	v_add_f16_e32 v44, v89, v87
	v_pack_b32_f16 v30, v9, v30
	v_pack_b32_f16 v28, v28, v56
	;; [unrolled: 1-line block ×3, first 2 shown]
	v_mad_u64_u32 v[8:9], null, v121, 12, s[2:3]
	v_pack_b32_f16 v45, v57, v58
	v_pack_b32_f16 v31, v31, v44
	ds_write2_b32 v155, v29, v26 offset1:28
	ds_write2_b32 v155, v28, v45 offset0:56 offset1:84
	ds_write2_b32 v155, v30, v27 offset0:112 offset1:140
	ds_write_b32 v155, v31 offset:672
	s_waitcnt lgkmcnt(0)
	s_barrier
	buffer_gl0_inv
	global_load_dwordx3 v[44:46], v[8:9], off offset:756
	v_mov_b32_e32 v26, 0xa73
	v_mul_u32_u24_sdwa v8, v24, v26 dst_sel:DWORD dst_unused:UNUSED_PAD src0_sel:WORD_0 src1_sel:DWORD
	v_lshrrev_b32_e32 v8, 17, v8
	v_mul_lo_u16 v8, 0xc4, v8
	v_sub_nc_u16 v11, v11, v8
	v_mul_lo_u16 v8, v11, 12
	v_lshlrev_b32_sdwa v11, v10, v11 dst_sel:DWORD dst_unused:UNUSED_PAD src0_sel:DWORD src1_sel:WORD_0
	v_and_b32_e32 v8, 0xffff, v8
	v_add_co_u32 v8, s0, s2, v8
	v_add_co_ci_u32_e64 v9, null, s3, 0, s0
	global_load_dwordx3 v[56:58], v[8:9], off offset:756
	v_mul_u32_u24_sdwa v8, v25, v26 dst_sel:DWORD dst_unused:UNUSED_PAD src0_sel:WORD_0 src1_sel:DWORD
	v_lshrrev_b32_e32 v8, 17, v8
	v_mul_lo_u16 v8, 0xc4, v8
	v_sub_nc_u16 v157, v16, v8
	v_lshrrev_b16 v16, 2, v18
	v_mul_lo_u16 v8, v157, 12
	v_and_b32_e32 v8, 0xffff, v8
	v_add_co_u32 v8, s0, s2, v8
	v_add_co_ci_u32_e64 v9, null, s3, 0, s0
	global_load_dwordx3 v[68:70], v[8:9], off offset:756
	v_mul_u32_u24_sdwa v8, v16, v26 dst_sel:DWORD dst_unused:UNUSED_PAD src0_sel:WORD_0 src1_sel:DWORD
	v_lshrrev_b16 v16, 2, v19
	v_lshrrev_b32_e32 v8, 17, v8
	v_mul_lo_u16 v8, 0xc4, v8
	v_sub_nc_u16 v159, v18, v8
	v_mul_lo_u16 v8, v159, 12
	v_and_b32_e32 v8, 0xffff, v8
	v_add_co_u32 v8, s0, s2, v8
	v_add_co_ci_u32_e64 v9, null, s3, 0, s0
	global_load_dwordx3 v[65:67], v[8:9], off offset:756
	v_mul_u32_u24_sdwa v8, v16, v26 dst_sel:DWORD dst_unused:UNUSED_PAD src0_sel:WORD_0 src1_sel:DWORD
	v_lshrrev_b16 v16, 2, v17
	v_lshrrev_b32_e32 v8, 17, v8
	v_mul_lo_u16 v8, 0xc4, v8
	v_sub_nc_u16 v163, v19, v8
	v_mul_lo_u16 v8, v163, 12
	v_and_b32_e32 v8, 0xffff, v8
	v_add_co_u32 v8, s0, s2, v8
	v_add_co_ci_u32_e64 v9, null, s3, 0, s0
	global_load_dwordx3 v[62:64], v[8:9], off offset:756
	v_mul_u32_u24_sdwa v8, v16, v26 dst_sel:DWORD dst_unused:UNUSED_PAD src0_sel:WORD_0 src1_sel:DWORD
	v_lshrrev_b32_e32 v8, 17, v8
	v_mul_lo_u16 v8, 0xc4, v8
	v_sub_nc_u16 v164, v17, v8
	v_mul_lo_u16 v8, v164, 12
	v_and_b32_e32 v8, 0xffff, v8
	v_add_co_u32 v8, s0, s2, v8
	v_add_co_ci_u32_e64 v9, null, s3, 0, s0
	global_load_dwordx3 v[59:61], v[8:9], off offset:756
	ds_read2_b32 v[8:9], v112 offset0:24 offset1:220
	ds_read2_b32 v[16:17], v109 offset0:56 offset1:252
	;; [unrolled: 1-line block ×3, first 2 shown]
	ds_read2_b32 v[24:25], v124 offset1:196
	s_waitcnt lgkmcnt(3)
	v_lshrrev_b32_e32 v26, 16, v9
	s_waitcnt lgkmcnt(2)
	v_lshrrev_b32_e32 v28, 16, v16
	;; [unrolled: 2-line block ×4, first 2 shown]
	s_waitcnt vmcnt(5)
	v_mul_f16_sdwa v27, v9, v44 dst_sel:DWORD dst_unused:UNUSED_PAD src0_sel:DWORD src1_sel:WORD_1
	v_mul_f16_sdwa v29, v16, v45 dst_sel:DWORD dst_unused:UNUSED_PAD src0_sel:DWORD src1_sel:WORD_1
	;; [unrolled: 1-line block ×5, first 2 shown]
	v_fmac_f16_e32 v27, v26, v44
	v_mul_f16_sdwa v26, v26, v44 dst_sel:DWORD dst_unused:UNUSED_PAD src0_sel:DWORD src1_sel:WORD_1
	v_fmac_f16_e32 v29, v28, v45
	v_mul_f16_sdwa v28, v28, v45 dst_sel:DWORD dst_unused:UNUSED_PAD src0_sel:DWORD src1_sel:WORD_1
	v_fmac_f16_e32 v82, v30, v46
	v_fma_f16 v19, v19, v46, -v31
	v_fma_f16 v9, v9, v44, -v26
	v_lshrrev_b32_e32 v26, 16, v24
	v_fma_f16 v16, v16, v45, -v28
	v_sub_f16_e32 v31, v27, v82
	v_sub_f16_e32 v19, v9, v19
	;; [unrolled: 1-line block ×4, first 2 shown]
	v_fma_f16 v9, v9, 2.0, -v19
	v_fma_f16 v82, v26, 2.0, -v30
	;; [unrolled: 1-line block ×4, first 2 shown]
	v_sub_f16_e32 v158, v16, v31
	v_add_f16_e32 v19, v30, v19
	v_sub_f16_e32 v156, v82, v26
	ds_read2_b32 v[26:27], v131 offset0:32 offset1:228
	ds_read2_b32 v[28:29], v105 offset0:24 offset1:220
	v_sub_f16_e32 v9, v24, v9
	v_fma_f16 v16, v16, 2.0, -v158
	v_fma_f16 v30, v30, 2.0, -v19
	;; [unrolled: 1-line block ×3, first 2 shown]
	v_pack_b32_f16 v19, v158, v19
	v_fma_f16 v24, v24, 2.0, -v9
	v_pack_b32_f16 v9, v9, v156
	v_pack_b32_f16 v165, v16, v30
	;; [unrolled: 1-line block ×3, first 2 shown]
	v_lshrrev_b32_e32 v24, 16, v17
	ds_read2_b32 v[30:31], v114 offset0:8 offset1:204
	ds_read2_b32 v[82:83], v129 offset1:196
	ds_read2_b32 v[84:85], v110 offset0:40 offset1:236
	ds_read2_b32 v[86:87], v125 offset0:32 offset1:228
	v_mul_f16_sdwa v16, v24, v45 dst_sel:DWORD dst_unused:UNUSED_PAD src0_sel:DWORD src1_sel:WORD_1
	v_fmac_f16_e32 v88, v24, v45
	s_waitcnt lgkmcnt(5)
	v_lshrrev_b32_e32 v89, 16, v26
	s_waitcnt lgkmcnt(4)
	v_lshrrev_b32_e32 v161, 16, v28
	v_mul_f16_sdwa v24, v26, v44 dst_sel:DWORD dst_unused:UNUSED_PAD src0_sel:DWORD src1_sel:WORD_1
	v_fma_f16 v162, v17, v45, -v16
	v_mul_f16_sdwa v166, v28, v46 dst_sel:DWORD dst_unused:UNUSED_PAD src0_sel:DWORD src1_sel:WORD_1
	v_mul_f16_sdwa v16, v89, v44 dst_sel:DWORD dst_unused:UNUSED_PAD src0_sel:DWORD src1_sel:WORD_1
	;; [unrolled: 1-line block ×3, first 2 shown]
	v_fmac_f16_e32 v24, v89, v44
	v_sub_f16_e32 v168, v25, v162
	v_fmac_f16_e32 v166, v161, v46
	v_fma_f16 v26, v26, v44, -v16
	v_fma_f16 v28, v28, v46, -v17
	v_sub_f16_e32 v169, v167, v88
	v_fma_f16 v170, v25, 2.0, -v168
	v_sub_f16_e32 v166, v24, v166
	s_waitcnt lgkmcnt(2)
	v_lshrrev_b32_e32 v173, 16, v82
	v_sub_f16_e32 v28, v26, v28
	v_fma_f16 v167, v167, 2.0, -v169
	s_waitcnt vmcnt(4)
	v_mul_f16_sdwa v174, v82, v57 dst_sel:DWORD dst_unused:UNUSED_PAD src0_sel:DWORD src1_sel:WORD_1
	v_fma_f16 v171, v24, 2.0, -v166
	v_sub_f16_e32 v158, v168, v166
	v_fma_f16 v26, v26, 2.0, -v28
	v_lshrrev_b32_e32 v166, 16, v29
	v_mul_f16_sdwa v175, v173, v57 dst_sel:DWORD dst_unused:UNUSED_PAD src0_sel:DWORD src1_sel:WORD_1
	v_sub_f16_e32 v171, v167, v171
	v_add_f16_e32 v28, v169, v28
	v_sub_f16_e32 v26, v170, v26
	v_mul_f16_sdwa v172, v166, v58 dst_sel:DWORD dst_unused:UNUSED_PAD src0_sel:DWORD src1_sel:WORD_1
	v_fmac_f16_e32 v174, v173, v57
	v_fma_f16 v167, v167, 2.0, -v171
	v_lshrrev_b32_e32 v173, 16, v30
	v_fma_f16 v156, v170, 2.0, -v26
	v_lshrrev_b32_e32 v170, 16, v27
	v_fma_f16 v172, v29, v58, -v172
	v_mul_f16_sdwa v29, v29, v58 dst_sel:DWORD dst_unused:UNUSED_PAD src0_sel:DWORD src1_sel:WORD_1
	v_fma_f16 v82, v82, v57, -v175
	v_pack_b32_f16 v156, v156, v167
	v_mul_f16_sdwa v167, v170, v56 dst_sel:DWORD dst_unused:UNUSED_PAD src0_sel:DWORD src1_sel:WORD_1
	v_fma_f16 v168, v168, 2.0, -v158
	v_fmac_f16_e32 v29, v166, v58
	v_fma_f16 v166, v169, 2.0, -v28
	v_sub_f16_e32 v169, v173, v174
	v_fma_f16 v167, v27, v56, -v167
	v_mul_f16_sdwa v27, v27, v56 dst_sel:DWORD dst_unused:UNUSED_PAD src0_sel:DWORD src1_sel:WORD_1
	v_sub_f16_e32 v82, v30, v82
	v_pack_b32_f16 v166, v168, v166
	v_fma_f16 v168, v173, 2.0, -v169
	ds_read2_b32 v[16:17], v132 offset0:16 offset1:212
	v_fmac_f16_e32 v27, v170, v56
	v_sub_f16_e32 v170, v167, v172
	v_fma_f16 v30, v30, 2.0, -v82
	ds_read2_b32 v[88:89], v107 offset0:8 offset1:204
	ds_read2_b32 v[24:25], v130 offset0:48 offset1:244
	;; [unrolled: 1-line block ×3, first 2 shown]
	v_sub_f16_e32 v29, v27, v29
	v_fma_f16 v167, v167, 2.0, -v170
	s_waitcnt vmcnt(0) lgkmcnt(0)
	s_barrier
	buffer_gl0_inv
	v_fma_f16 v27, v27, 2.0, -v29
	ds_write2_b32 v124, v160, v165 offset1:196
	ds_write2_b32 v114, v9, v19 offset0:8 offset1:204
	ds_write2_b32 v132, v156, v166 offset0:16 offset1:212
	v_sub_f16_e32 v9, v30, v167
	v_lshrrev_b32_e32 v160, 16, v83
	v_pack_b32_f16 v28, v158, v28
	v_sub_f16_e32 v19, v168, v27
	v_sub_f16_e32 v27, v82, v29
	v_add_f16_e32 v29, v169, v170
	v_fma_f16 v30, v30, 2.0, -v9
	v_mul_f16_sdwa v158, v83, v69 dst_sel:DWORD dst_unused:UNUSED_PAD src0_sel:DWORD src1_sel:WORD_1
	v_fma_f16 v156, v168, 2.0, -v19
	v_fma_f16 v82, v82, 2.0, -v27
	;; [unrolled: 1-line block ×3, first 2 shown]
	v_lshrrev_b32_e32 v166, 16, v86
	v_fmac_f16_e32 v158, v160, v69
	v_pack_b32_f16 v30, v30, v156
	v_mul_f16_sdwa v156, v160, v69 dst_sel:DWORD dst_unused:UNUSED_PAD src0_sel:DWORD src1_sel:WORD_1
	v_pack_b32_f16 v82, v82, v165
	v_lshrrev_b32_e32 v165, 16, v84
	v_mul_f16_sdwa v160, v84, v68 dst_sel:DWORD dst_unused:UNUSED_PAD src0_sel:DWORD src1_sel:WORD_1
	v_mul_f16_sdwa v167, v166, v70 dst_sel:DWORD dst_unused:UNUSED_PAD src0_sel:DWORD src1_sel:WORD_1
	v_fma_f16 v83, v83, v69, -v156
	v_mul_f16_sdwa v168, v86, v70 dst_sel:DWORD dst_unused:UNUSED_PAD src0_sel:DWORD src1_sel:WORD_1
	v_mul_f16_sdwa v156, v165, v68 dst_sel:DWORD dst_unused:UNUSED_PAD src0_sel:DWORD src1_sel:WORD_1
	v_lshrrev_b32_e32 v169, 16, v31
	v_fmac_f16_e32 v160, v165, v68
	v_fma_f16 v86, v86, v70, -v167
	v_fmac_f16_e32 v168, v166, v70
	v_fma_f16 v84, v84, v68, -v156
	v_sub_f16_e32 v83, v31, v83
	v_sub_f16_e32 v158, v169, v158
	v_pack_b32_f16 v26, v26, v171
	v_sub_f16_e32 v165, v160, v168
	v_sub_f16_e32 v86, v84, v86
	v_fma_f16 v31, v31, 2.0, -v83
	v_fma_f16 v166, v169, 2.0, -v158
	v_add_nc_u32_e32 v156, 0x1800, v11
	v_fma_f16 v160, v160, 2.0, -v165
	v_fma_f16 v84, v84, 2.0, -v86
	ds_write2_b32 v112, v26, v28 offset0:24 offset1:220
	ds_write2_b32 v156, v30, v82 offset0:32 offset1:228
	v_pack_b32_f16 v9, v9, v19
	v_sub_f16_e32 v26, v166, v160
	v_sub_f16_e32 v19, v31, v84
	v_pack_b32_f16 v27, v27, v29
	v_sub_f16_e32 v28, v83, v165
	v_add_f16_e32 v29, v158, v86
	v_lshrrev_b32_e32 v82, 16, v85
	v_fma_f16 v30, v31, 2.0, -v19
	v_fma_f16 v31, v166, 2.0, -v26
	;; [unrolled: 1-line block ×4, first 2 shown]
	v_lshrrev_b32_e32 v86, 16, v87
	v_add_nc_u32_e32 v158, 0x1e00, v11
	v_mul_f16_sdwa v11, v82, v65 dst_sel:DWORD dst_unused:UNUSED_PAD src0_sel:DWORD src1_sel:WORD_1
	v_pack_b32_f16 v30, v30, v31
	v_pack_b32_f16 v31, v83, v84
	v_mul_f16_sdwa v83, v86, v67 dst_sel:DWORD dst_unused:UNUSED_PAD src0_sel:DWORD src1_sel:WORD_1
	v_lshrrev_b32_e32 v84, 16, v88
	v_fma_f16 v11, v85, v65, -v11
	v_mul_f16_sdwa v160, v88, v66 dst_sel:DWORD dst_unused:UNUSED_PAD src0_sel:DWORD src1_sel:WORD_1
	v_mul_f16_sdwa v85, v85, v65 dst_sel:DWORD dst_unused:UNUSED_PAD src0_sel:DWORD src1_sel:WORD_1
	v_fma_f16 v83, v87, v67, -v83
	v_mul_f16_sdwa v165, v84, v66 dst_sel:DWORD dst_unused:UNUSED_PAD src0_sel:DWORD src1_sel:WORD_1
	v_mul_f16_sdwa v87, v87, v67 dst_sel:DWORD dst_unused:UNUSED_PAD src0_sel:DWORD src1_sel:WORD_1
	v_fmac_f16_e32 v160, v84, v66
	v_lshrrev_b32_e32 v84, 16, v16
	v_fmac_f16_e32 v85, v82, v65
	v_fma_f16 v82, v88, v66, -v165
	v_fmac_f16_e32 v87, v86, v67
	v_lshlrev_b32_sdwa v86, v10, v157 dst_sel:DWORD dst_unused:UNUSED_PAD src0_sel:DWORD src1_sel:WORD_0
	v_sub_f16_e32 v88, v84, v160
	v_sub_f16_e32 v83, v11, v83
	;; [unrolled: 1-line block ×4, first 2 shown]
	v_add_nc_u32_e32 v160, 0x2400, v86
	v_fma_f16 v84, v84, 2.0, -v88
	v_fma_f16 v11, v11, 2.0, -v83
	;; [unrolled: 1-line block ×4, first 2 shown]
	ds_write2_b32 v158, v9, v27 offset0:40 offset1:236
	ds_write2_b32 v160, v30, v31 offset0:48 offset1:244
	v_pack_b32_f16 v9, v19, v26
	v_pack_b32_f16 v26, v28, v29
	v_sub_f16_e32 v27, v82, v87
	v_add_f16_e32 v28, v88, v83
	v_sub_f16_e32 v11, v16, v11
	v_sub_f16_e32 v19, v84, v85
	v_lshrrev_b32_e32 v30, 16, v89
	v_fma_f16 v31, v82, 2.0, -v27
	v_fma_f16 v82, v88, 2.0, -v28
	;; [unrolled: 1-line block ×4, first 2 shown]
	v_mul_f16_sdwa v83, v89, v63 dst_sel:DWORD dst_unused:UNUSED_PAD src0_sel:DWORD src1_sel:WORD_1
	v_lshrrev_b32_e32 v84, 16, v161
	v_pack_b32_f16 v31, v31, v82
	v_lshrrev_b32_e32 v82, 16, v24
	v_add_nc_u32_e32 v157, 0x2a00, v86
	v_pack_b32_f16 v16, v16, v29
	v_mul_f16_sdwa v29, v30, v63 dst_sel:DWORD dst_unused:UNUSED_PAD src0_sel:DWORD src1_sel:WORD_1
	v_fmac_f16_e32 v83, v30, v63
	v_mul_f16_sdwa v30, v24, v62 dst_sel:DWORD dst_unused:UNUSED_PAD src0_sel:DWORD src1_sel:WORD_1
	v_mul_f16_sdwa v85, v82, v62 dst_sel:DWORD dst_unused:UNUSED_PAD src0_sel:DWORD src1_sel:WORD_1
	;; [unrolled: 1-line block ×3, first 2 shown]
	v_fma_f16 v29, v89, v63, -v29
	v_mul_f16_sdwa v87, v161, v64 dst_sel:DWORD dst_unused:UNUSED_PAD src0_sel:DWORD src1_sel:WORD_1
	v_fmac_f16_e32 v30, v82, v62
	v_fma_f16 v24, v24, v62, -v85
	v_fma_f16 v82, v161, v64, -v86
	v_lshrrev_b32_e32 v88, 16, v17
	v_fmac_f16_e32 v87, v84, v64
	v_sub_f16_e32 v29, v17, v29
	v_lshlrev_b32_sdwa v84, v10, v159 dst_sel:DWORD dst_unused:UNUSED_PAD src0_sel:DWORD src1_sel:WORD_0
	v_sub_f16_e32 v82, v24, v82
	v_sub_f16_e32 v83, v88, v83
	;; [unrolled: 1-line block ×3, first 2 shown]
	v_fma_f16 v17, v17, 2.0, -v29
	v_add_nc_u32_e32 v161, 0x3100, v84
	v_fma_f16 v24, v24, 2.0, -v82
	v_fma_f16 v86, v88, 2.0, -v83
	;; [unrolled: 1-line block ×3, first 2 shown]
	ds_write2_b32 v157, v9, v26 offset0:56 offset1:252
	ds_write2_b32 v161, v16, v31 offset1:196
	v_pack_b32_f16 v9, v11, v19
	v_sub_f16_e32 v11, v17, v24
	v_pack_b32_f16 v19, v27, v28
	v_lshrrev_b32_e32 v24, 16, v25
	v_lshrrev_b32_e32 v28, 16, v18
	v_sub_f16_e32 v16, v86, v30
	v_add_nc_u32_e32 v159, 0x3700, v84
	v_lshrrev_b32_e32 v31, 16, v162
	v_mul_f16_sdwa v30, v24, v59 dst_sel:DWORD dst_unused:UNUSED_PAD src0_sel:DWORD src1_sel:WORD_1
	v_mul_f16_sdwa v84, v28, v60 dst_sel:DWORD dst_unused:UNUSED_PAD src0_sel:DWORD src1_sel:WORD_1
	v_fma_f16 v26, v86, 2.0, -v16
	v_sub_f16_e32 v27, v29, v85
	v_mul_f16_sdwa v85, v31, v61 dst_sel:DWORD dst_unused:UNUSED_PAD src0_sel:DWORD src1_sel:WORD_1
	v_fma_f16 v30, v25, v59, -v30
	v_mul_f16_sdwa v86, v18, v60 dst_sel:DWORD dst_unused:UNUSED_PAD src0_sel:DWORD src1_sel:WORD_1
	v_mul_f16_sdwa v25, v25, v59 dst_sel:DWORD dst_unused:UNUSED_PAD src0_sel:DWORD src1_sel:WORD_1
	v_fma_f16 v18, v18, v60, -v84
	v_mul_f16_sdwa v84, v162, v61 dst_sel:DWORD dst_unused:UNUSED_PAD src0_sel:DWORD src1_sel:WORD_1
	v_add_f16_e32 v82, v83, v82
	v_fma_f16 v85, v162, v61, -v85
	v_fmac_f16_e32 v86, v28, v60
	v_lshrrev_b32_e32 v28, 16, v8
	v_fmac_f16_e32 v25, v24, v59
	v_fmac_f16_e32 v84, v31, v61
	v_fma_f16 v24, v83, 2.0, -v82
	v_sub_f16_e32 v18, v8, v18
	v_sub_f16_e32 v31, v28, v86
	;; [unrolled: 1-line block ×4, first 2 shown]
	v_fma_f16 v17, v17, 2.0, -v11
	v_fma_f16 v29, v29, 2.0, -v27
	;; [unrolled: 1-line block ×6, first 2 shown]
	v_pack_b32_f16 v17, v17, v26
	v_pack_b32_f16 v24, v29, v24
	v_sub_f16_e32 v29, v18, v84
	v_sub_f16_e32 v26, v8, v30
	;; [unrolled: 1-line block ×3, first 2 shown]
	v_add_f16_e32 v30, v31, v83
	v_pack_b32_f16 v11, v11, v16
	v_fma_f16 v18, v18, 2.0, -v29
	v_fma_f16 v8, v8, 2.0, -v26
	;; [unrolled: 1-line block ×4, first 2 shown]
	v_lshlrev_b32_sdwa v85, v10, v163 dst_sel:DWORD dst_unused:UNUSED_PAD src0_sel:DWORD src1_sel:WORD_0
	v_lshlrev_b32_sdwa v10, v10, v164 dst_sel:DWORD dst_unused:UNUSED_PAD src0_sel:DWORD src1_sel:WORD_0
	v_pack_b32_f16 v27, v27, v82
	v_pack_b32_f16 v8, v8, v16
	v_pack_b32_f16 v16, v18, v28
	v_pack_b32_f16 v18, v26, v25
	v_pack_b32_f16 v25, v29, v30
	v_mad_u64_u32 v[28:29], null, v121, 24, s[2:3]
	v_add_nc_u32_e32 v162, 0x3d00, v85
	v_add_nc_u32_e32 v163, 0x4300, v85
	;; [unrolled: 1-line block ×4, first 2 shown]
	ds_write2_b32 v159, v9, v19 offset0:8 offset1:204
	ds_write2_b32 v162, v17, v24 offset0:16 offset1:212
	ds_write2_b32 v163, v11, v27 offset0:24 offset1:220
	ds_write2_b32 v164, v8, v16 offset0:32 offset1:228
	ds_write2_b32 v165, v18, v25 offset0:40 offset1:236
	s_waitcnt lgkmcnt(0)
	v_add_co_u32 v24, vcc_lo, 0x800, v28
	v_add_co_ci_u32_e32 v25, vcc_lo, 0, v29, vcc_lo
	v_add_co_u32 v26, vcc_lo, 0x1800, v28
	v_add_co_ci_u32_e32 v27, vcc_lo, 0, v29, vcc_lo
	s_barrier
	buffer_gl0_inv
	s_clause 0x3
	global_load_dwordx4 v[16:19], v[24:25], off offset:1060
	global_load_dwordx4 v[8:11], v[26:27], off offset:1668
	global_load_dwordx2 v[84:85], v[24:25], off offset:1076
	global_load_dwordx2 v[82:83], v[26:27], off offset:1684
	v_add_co_u32 v30, vcc_lo, 0x3000, v28
	v_add_co_ci_u32_e32 v31, vcc_lo, 0, v29, vcc_lo
	s_clause 0x1
	global_load_dwordx4 v[24:27], v[30:31], off offset:228
	global_load_dwordx2 v[86:87], v[30:31], off offset:244
	ds_read2_b32 v[30:31], v132 offset0:16 offset1:212
	ds_read2_b32 v[88:89], v131 offset0:32 offset1:228
	;; [unrolled: 1-line block ×3, first 2 shown]
	v_add_co_u32 v168, vcc_lo, 0x4000, v28
	v_add_co_ci_u32_e32 v169, vcc_lo, 0, v29, vcc_lo
	ds_read2_b32 v[28:29], v129 offset1:196
	s_mov_b32 s2, 0x515a4f1d
	s_mov_b32 s3, 0x3f27e225
	s_waitcnt lgkmcnt(3)
	v_lshrrev_b32_e32 v170, 16, v30
	v_lshrrev_b32_e32 v171, 16, v31
	s_waitcnt lgkmcnt(2)
	v_lshrrev_b32_e32 v175, 16, v89
	s_waitcnt lgkmcnt(1)
	;; [unrolled: 2-line block ×3, first 2 shown]
	v_lshrrev_b32_e32 v185, 16, v29
	s_waitcnt vmcnt(5)
	v_mul_f16_sdwa v172, v170, v16 dst_sel:DWORD dst_unused:UNUSED_PAD src0_sel:DWORD src1_sel:WORD_1
	v_mul_f16_sdwa v176, v30, v16 dst_sel:DWORD dst_unused:UNUSED_PAD src0_sel:DWORD src1_sel:WORD_1
	s_waitcnt vmcnt(4)
	v_mul_f16_sdwa v181, v31, v8 dst_sel:DWORD dst_unused:UNUSED_PAD src0_sel:DWORD src1_sel:WORD_1
	v_mul_f16_sdwa v173, v171, v8 dst_sel:DWORD dst_unused:UNUSED_PAD src0_sel:DWORD src1_sel:WORD_1
	;; [unrolled: 1-line block ×3, first 2 shown]
	v_fma_f16 v174, v30, v16, -v172
	v_lshrrev_b32_e32 v172, 16, v88
	v_fmac_f16_e32 v176, v170, v16
	v_fmac_f16_e32 v181, v171, v8
	ds_read2_b32 v[170:171], v128 offset0:16 offset1:212
	v_fma_f16 v180, v31, v8, -v173
	v_mul_f16_sdwa v30, v172, v17 dst_sel:DWORD dst_unused:UNUSED_PAD src0_sel:DWORD src1_sel:WORD_1
	v_fmac_f16_e32 v177, v172, v17
	ds_read2_b32 v[172:173], v125 offset0:32 offset1:228
	v_mul_f16_sdwa v31, v175, v9 dst_sel:DWORD dst_unused:UNUSED_PAD src0_sel:DWORD src1_sel:WORD_1
	v_mul_f16_sdwa v179, v166, v18 dst_sel:DWORD dst_unused:UNUSED_PAD src0_sel:DWORD src1_sel:WORD_1
	v_fma_f16 v178, v88, v17, -v30
	v_lshrrev_b32_e32 v30, 16, v166
	v_mul_f16_sdwa v88, v183, v10 dst_sel:DWORD dst_unused:UNUSED_PAD src0_sel:DWORD src1_sel:WORD_1
	v_fma_f16 v182, v89, v9, -v31
	v_mul_f16_sdwa v184, v89, v9 dst_sel:DWORD dst_unused:UNUSED_PAD src0_sel:DWORD src1_sel:WORD_1
	v_mul_f16_sdwa v89, v185, v11 dst_sel:DWORD dst_unused:UNUSED_PAD src0_sel:DWORD src1_sel:WORD_1
	;; [unrolled: 1-line block ×3, first 2 shown]
	v_fmac_f16_e32 v179, v30, v18
	v_lshrrev_b32_e32 v30, 16, v28
	v_fma_f16 v187, v167, v10, -v88
	v_mul_f16_sdwa v186, v28, v19 dst_sel:DWORD dst_unused:UNUSED_PAD src0_sel:DWORD src1_sel:WORD_1
	v_fma_f16 v166, v166, v18, -v31
	v_fma_f16 v189, v29, v11, -v89
	s_waitcnt lgkmcnt(1)
	v_lshrrev_b32_e32 v88, 16, v170
	s_waitcnt vmcnt(3)
	v_mul_f16_sdwa v190, v170, v84 dst_sel:DWORD dst_unused:UNUSED_PAD src0_sel:DWORD src1_sel:WORD_1
	v_mul_f16_sdwa v31, v30, v19 dst_sel:DWORD dst_unused:UNUSED_PAD src0_sel:DWORD src1_sel:WORD_1
	v_lshrrev_b32_e32 v192, 16, v171
	v_mul_f16_sdwa v188, v167, v10 dst_sel:DWORD dst_unused:UNUSED_PAD src0_sel:DWORD src1_sel:WORD_1
	v_mul_f16_sdwa v89, v88, v84 dst_sel:DWORD dst_unused:UNUSED_PAD src0_sel:DWORD src1_sel:WORD_1
	v_fmac_f16_e32 v190, v88, v84
	s_waitcnt lgkmcnt(0)
	v_lshrrev_b32_e32 v88, 16, v172
	v_fmac_f16_e32 v186, v30, v19
	v_fma_f16 v167, v28, v19, -v31
	v_mul_f16_sdwa v191, v29, v11 dst_sel:DWORD dst_unused:UNUSED_PAD src0_sel:DWORD src1_sel:WORD_1
	global_load_dwordx4 v[28:31], v[168:169], off offset:836
	s_waitcnt vmcnt(3)
	v_mul_f16_sdwa v194, v192, v82 dst_sel:DWORD dst_unused:UNUSED_PAD src0_sel:DWORD src1_sel:WORD_1
	v_fma_f16 v170, v170, v84, -v89
	v_mul_f16_sdwa v195, v172, v85 dst_sel:DWORD dst_unused:UNUSED_PAD src0_sel:DWORD src1_sel:WORD_1
	v_mul_f16_sdwa v89, v88, v85 dst_sel:DWORD dst_unused:UNUSED_PAD src0_sel:DWORD src1_sel:WORD_1
	v_mul_f16_sdwa v197, v171, v82 dst_sel:DWORD dst_unused:UNUSED_PAD src0_sel:DWORD src1_sel:WORD_1
	v_fma_f16 v194, v171, v82, -v194
	v_lshrrev_b32_e32 v193, 16, v173
	v_fmac_f16_e32 v195, v88, v85
	v_fma_f16 v171, v172, v85, -v89
	global_load_dwordx2 v[88:89], v[168:169], off offset:852
	v_mul_f16_sdwa v198, v173, v83 dst_sel:DWORD dst_unused:UNUSED_PAD src0_sel:DWORD src1_sel:WORD_1
	v_mul_f16_sdwa v196, v193, v83 dst_sel:DWORD dst_unused:UNUSED_PAD src0_sel:DWORD src1_sel:WORD_1
	v_fmac_f16_e32 v184, v175, v9
	v_add_f16_e32 v168, v174, v171
	v_sub_f16_e32 v169, v174, v171
	v_add_f16_e32 v171, v176, v195
	v_fma_f16 v196, v173, v83, -v196
	v_add_f16_e32 v173, v178, v170
	v_sub_f16_e32 v172, v176, v195
	v_add_f16_e32 v174, v177, v190
	v_sub_f16_e32 v175, v177, v190
	v_add_f16_e32 v176, v166, v167
	v_add_f16_e32 v177, v173, v168
	v_sub_f16_e32 v170, v178, v170
	v_sub_f16_e32 v166, v167, v166
	v_add_f16_e32 v167, v179, v186
	v_sub_f16_e32 v178, v186, v179
	v_sub_f16_e32 v179, v173, v168
	;; [unrolled: 1-line block ×4, first 2 shown]
	v_add_f16_e32 v176, v176, v177
	v_add_f16_e32 v177, v174, v171
	v_fmac_f16_e32 v188, v183, v10
	v_fmac_f16_e32 v191, v185, v11
	v_sub_f16_e32 v183, v174, v171
	v_sub_f16_e32 v171, v171, v167
	;; [unrolled: 1-line block ×3, first 2 shown]
	v_add_f16_e32 v185, v166, v170
	v_add_f16_e32 v177, v167, v177
	v_sub_f16_e32 v186, v166, v170
	v_sub_f16_e32 v190, v169, v166
	ds_read2_b32 v[166:167], v124 offset1:196
	v_sub_f16_e32 v170, v170, v169
	v_add_f16_e32 v169, v185, v169
	v_add_f16_e32 v185, v178, v175
	v_fmac_f16_e32 v197, v192, v82
	v_fmac_f16_e32 v198, v193, v83
	v_sub_f16_e32 v192, v178, v175
	v_mul_f16_e32 v168, 0x3a52, v168
	v_sub_f16_e32 v178, v172, v178
	v_sub_f16_e32 v175, v175, v172
	v_mul_f16_e32 v193, 0x2b26, v173
	v_add_f16_e32 v172, v185, v172
	v_mul_f16_e32 v171, 0x3a52, v171
	v_mul_f16_e32 v185, 0x2b26, v174
	v_fmamk_f16 v173, v173, 0x2b26, v168
	v_fma_f16 v193, v179, 0x39e0, -v193
	v_fma_f16 v168, v179, 0xb9e0, -v168
	v_mul_f16_e32 v179, 0xb846, v186
	v_fmamk_f16 v174, v174, 0x2b26, v171
	v_fma_f16 v185, v183, 0x39e0, -v185
	v_fma_f16 v171, v183, 0xb9e0, -v171
	v_mul_f16_e32 v183, 0xbb00, v170
	v_fma_f16 v170, v170, 0x3b00, -v179
	v_fmamk_f16 v179, v190, 0x3574, v179
	s_waitcnt lgkmcnt(0)
	v_add_f16_e32 v186, v166, v176
	v_mul_f16_e32 v192, 0xb846, v192
	v_fmac_f16_e32 v183, 0xb574, v190
	v_add_f16_sdwa v166, v166, v177 dst_sel:DWORD dst_unused:UNUSED_PAD src0_sel:WORD_1 src1_sel:DWORD
	v_mul_f16_e32 v190, 0xbb00, v175
	v_fmamk_f16 v176, v176, 0xbcab, v186
	v_fma_f16 v175, v175, 0x3b00, -v192
	v_fmamk_f16 v192, v178, 0x3574, v192
	v_fmamk_f16 v177, v177, 0xbcab, v166
	v_fmac_f16_e32 v190, 0xb574, v178
	v_add_f16_e32 v173, v173, v176
	v_add_f16_e32 v178, v193, v176
	v_add_f16_e32 v168, v168, v176
	v_add_f16_e32 v176, v185, v177
	v_fmac_f16_e32 v175, 0x370e, v172
	v_fmac_f16_e32 v170, 0x370e, v169
	v_fmac_f16_e32 v190, 0x370e, v172
	v_add_f16_e32 v174, v174, v177
	v_add_f16_e32 v171, v171, v177
	v_fmac_f16_e32 v179, 0x370e, v169
	v_fmac_f16_e32 v183, 0x370e, v169
	;; [unrolled: 1-line block ×3, first 2 shown]
	v_sub_f16_e32 v169, v178, v175
	v_add_f16_e32 v172, v175, v178
	v_add_f16_e32 v175, v170, v176
	v_sub_f16_e32 v170, v176, v170
	v_add_f16_e32 v176, v190, v168
	v_sub_f16_e32 v177, v168, v190
	v_add_f16_e32 v185, v180, v196
	v_add_f16_e32 v190, v182, v194
	;; [unrolled: 1-line block ×7, first 2 shown]
	v_sub_f16_e32 v203, v174, v179
	v_add_f16_e32 v200, v188, v191
	v_add_f16_e32 v201, v195, v193
	v_sub_f16_e32 v168, v171, v183
	v_add_f16_e32 v171, v183, v171
	v_add_f16_e32 v183, v199, v178
	v_pack_b32_f16 v178, v202, v203
	v_add_f16_e32 v201, v200, v201
	v_sub_f16_e32 v173, v173, v192
	v_pack_b32_f16 v186, v186, v166
	v_add_f16_e32 v192, v167, v183
	ds_write_b32 v124, v178 offset:3136
	v_add_f16_sdwa v202, v167, v201 dst_sel:DWORD dst_unused:UNUSED_PAD src0_sel:WORD_1 src1_sel:DWORD
	v_pack_b32_f16 v176, v176, v168
	v_pack_b32_f16 v175, v169, v175
	ds_read2_b32 v[166:167], v112 offset0:24 offset1:220
	ds_read2_b32 v[168:169], v104 offset0:40 offset1:236
	v_add_f16_e32 v174, v179, v174
	v_pack_b32_f16 v170, v172, v170
	v_pack_b32_f16 v171, v177, v171
	;; [unrolled: 1-line block ×3, first 2 shown]
	v_sub_f16_e32 v182, v182, v194
	v_pack_b32_f16 v172, v173, v174
	ds_write_b32 v124, v176 offset:6272
	ds_write_b32 v124, v175 offset:9408
	;; [unrolled: 1-line block ×5, first 2 shown]
	ds_read2_b32 v[170:171], v114 offset0:8 offset1:204
	ds_read2_b32 v[172:173], v110 offset0:40 offset1:236
	;; [unrolled: 1-line block ×5, first 2 shown]
	ds_write2_b32 v124, v186, v203 offset1:196
	v_sub_f16_e32 v187, v189, v187
	v_fmamk_f16 v183, v183, 0xbcab, v192
	v_sub_f16_e32 v180, v180, v196
	v_sub_f16_e32 v188, v191, v188
	;; [unrolled: 1-line block ×4, first 2 shown]
	v_fmamk_f16 v197, v201, 0xbcab, v202
	s_waitcnt lgkmcnt(12)
	v_lshrrev_b32_e32 v186, 16, v166
	s_waitcnt lgkmcnt(11)
	v_lshrrev_b32_e32 v194, 16, v168
	s_waitcnt vmcnt(3)
	v_mul_f16_sdwa v192, v166, v24 dst_sel:DWORD dst_unused:UNUSED_PAD src0_sel:DWORD src1_sel:WORD_1
	s_waitcnt vmcnt(2)
	v_mul_f16_sdwa v196, v168, v87 dst_sel:DWORD dst_unused:UNUSED_PAD src0_sel:DWORD src1_sel:WORD_1
	v_add_f16_e32 v205, v188, v184
	v_mul_f16_sdwa v189, v186, v24 dst_sel:DWORD dst_unused:UNUSED_PAD src0_sel:DWORD src1_sel:WORD_1
	v_mul_f16_sdwa v191, v194, v87 dst_sel:DWORD dst_unused:UNUSED_PAD src0_sel:DWORD src1_sel:WORD_1
	v_fmac_f16_e32 v192, v186, v24
	s_waitcnt lgkmcnt(4)
	v_lshrrev_b32_e32 v186, 16, v172
	v_fmac_f16_e32 v196, v194, v87
	v_fma_f16 v166, v166, v24, -v189
	s_waitcnt lgkmcnt(1)
	v_lshrrev_b32_e32 v189, 16, v178
	v_fma_f16 v168, v168, v87, -v191
	v_mul_f16_sdwa v194, v186, v25 dst_sel:DWORD dst_unused:UNUSED_PAD src0_sel:DWORD src1_sel:WORD_1
	v_mul_f16_sdwa v201, v178, v86 dst_sel:DWORD dst_unused:UNUSED_PAD src0_sel:DWORD src1_sel:WORD_1
	v_mul_f16_sdwa v203, v174, v26 dst_sel:DWORD dst_unused:UNUSED_PAD src0_sel:DWORD src1_sel:WORD_1
	v_mul_f16_sdwa v198, v189, v86 dst_sel:DWORD dst_unused:UNUSED_PAD src0_sel:DWORD src1_sel:WORD_1
	v_add_f16_e32 v191, v166, v168
	v_sub_f16_e32 v166, v166, v168
	v_add_f16_e32 v168, v192, v196
	v_sub_f16_e32 v192, v192, v196
	v_mul_f16_sdwa v196, v172, v25 dst_sel:DWORD dst_unused:UNUSED_PAD src0_sel:DWORD src1_sel:WORD_1
	v_fma_f16 v172, v172, v25, -v194
	v_fma_f16 v178, v178, v86, -v198
	v_lshrrev_b32_e32 v194, 16, v174
	v_lshrrev_b32_e32 v198, 16, v176
	v_fmac_f16_e32 v201, v189, v86
	v_mul_f16_sdwa v204, v176, v27 dst_sel:DWORD dst_unused:UNUSED_PAD src0_sel:DWORD src1_sel:WORD_1
	v_fmac_f16_e32 v196, v186, v25
	v_mul_f16_sdwa v189, v194, v26 dst_sel:DWORD dst_unused:UNUSED_PAD src0_sel:DWORD src1_sel:WORD_1
	v_mul_f16_sdwa v202, v198, v27 dst_sel:DWORD dst_unused:UNUSED_PAD src0_sel:DWORD src1_sel:WORD_1
	v_fmac_f16_e32 v203, v194, v26
	v_fmac_f16_e32 v204, v198, v27
	v_add_f16_e32 v186, v172, v178
	v_fma_f16 v174, v174, v26, -v189
	v_fma_f16 v176, v176, v27, -v202
	v_sub_f16_e32 v172, v172, v178
	v_add_f16_e32 v178, v196, v201
	v_sub_f16_e32 v189, v196, v201
	v_sub_f16_e32 v196, v204, v203
	v_add_f16_e32 v194, v174, v176
	v_sub_f16_e32 v174, v176, v174
	v_add_f16_e32 v176, v203, v204
	v_sub_f16_e32 v198, v185, v199
	v_sub_f16_e32 v201, v193, v200
	;; [unrolled: 1-line block ×6, first 2 shown]
	v_add_f16_e32 v202, v187, v182
	v_sub_f16_e32 v187, v180, v187
	v_sub_f16_e32 v188, v181, v188
	v_mul_f16_e32 v198, 0x3a52, v198
	v_mul_f16_e32 v204, 0xb846, v204
	;; [unrolled: 1-line block ×4, first 2 shown]
	v_add_f16_e32 v205, v205, v181
	v_fmamk_f16 v206, v199, 0x2b26, v198
	v_fmamk_f16 v207, v188, 0x3574, v204
	v_add_f16_e32 v202, v202, v180
	v_fmamk_f16 v208, v200, 0x2b26, v201
	v_fmamk_f16 v209, v187, 0x3574, v203
	v_add_f16_e32 v210, v186, v191
	v_add_f16_e32 v211, v178, v168
	;; [unrolled: 1-line block ×3, first 2 shown]
	v_fmac_f16_e32 v207, 0x370e, v205
	v_add_f16_e32 v208, v208, v197
	v_fmac_f16_e32 v209, 0x370e, v202
	v_add_f16_e32 v210, v194, v210
	v_sub_f16_e32 v213, v191, v194
	v_add_f16_e32 v211, v176, v211
	v_sub_f16_e32 v214, v168, v176
	;; [unrolled: 2-line block ×3, first 2 shown]
	v_sub_f16_e32 v218, v196, v189
	v_sub_f16_e32 v180, v182, v180
	v_add_f16_e32 v212, v207, v206
	v_sub_f16_e32 v194, v194, v186
	v_sub_f16_e32 v176, v176, v178
	v_add_f16_e32 v217, v196, v189
	;; [unrolled: 3-line block ×3, first 2 shown]
	v_mul_f16_e32 v213, 0x3a52, v213
	v_add_f16_e32 v219, v170, v210
	v_add_f16_sdwa v170, v170, v211 dst_sel:DWORD dst_unused:UNUSED_PAD src0_sel:WORD_1 src1_sel:DWORD
	v_mul_f16_e32 v214, 0x3a52, v214
	v_mul_f16_e32 v216, 0xb846, v216
	;; [unrolled: 1-line block ×3, first 2 shown]
	v_sub_f16_e32 v224, v208, v209
	v_sub_f16_e32 v181, v184, v181
	v_sub_f16_e32 v185, v190, v185
	v_mul_f16_e32 v190, 0xbb00, v180
	v_sub_f16_e32 v166, v172, v166
	v_add_f16_e32 v217, v217, v192
	v_fmamk_f16 v210, v210, 0xbcab, v219
	v_fmamk_f16 v211, v211, 0xbcab, v170
	;; [unrolled: 1-line block ×6, first 2 shown]
	v_pack_b32_f16 v212, v212, v224
	v_mul_f16_e32 v224, 0xbb00, v181
	v_sub_f16_e32 v172, v195, v193
	v_sub_f16_e32 v189, v189, v192
	v_fmac_f16_e32 v190, 0xb574, v187
	v_mul_f16_e32 v187, 0xbb00, v166
	v_add_f16_e32 v220, v220, v210
	v_add_f16_e32 v221, v221, v211
	v_fmac_f16_e32 v222, 0x370e, v217
	v_fmac_f16_e32 v223, 0x370e, v215
	;; [unrolled: 1-line block ×3, first 2 shown]
	v_sub_f16_e32 v186, v186, v191
	v_mul_f16_e32 v188, 0xbb00, v189
	v_fma_f16 v191, v185, 0xb9e0, -v198
	v_sub_f16_e32 v168, v178, v168
	v_fmac_f16_e32 v187, 0xb574, v174
	v_fma_f16 v174, v172, 0xb9e0, -v201
	v_add_f16_e32 v182, v222, v220
	v_sub_f16_e32 v184, v221, v223
	v_fmac_f16_e32 v188, 0xb574, v196
	v_add_f16_e32 v178, v191, v183
	v_fma_f16 v191, v186, 0xb9e0, -v213
	v_fma_f16 v192, v168, 0xb9e0, -v214
	v_add_f16_e32 v174, v174, v197
	v_fmac_f16_e32 v224, 0x370e, v205
	v_fmac_f16_e32 v190, 0x370e, v202
	v_add_f16_e32 v191, v191, v210
	v_add_f16_e32 v192, v192, v211
	v_fmac_f16_e32 v188, 0x370e, v217
	v_fmac_f16_e32 v187, 0x370e, v215
	v_pack_b32_f16 v182, v182, v184
	v_add_f16_e32 v184, v224, v178
	v_sub_f16_e32 v193, v174, v190
	v_mul_f16_e32 v198, 0x2b26, v199
	v_mul_f16_e32 v199, 0x2b26, v200
	v_add_f16_e32 v195, v188, v191
	v_sub_f16_e32 v196, v192, v187
	ds_write2_b32 v136, v212, v182 offset0:20 offset1:216
	v_pack_b32_f16 v182, v184, v193
	v_fma_f16 v185, v185, 0x39e0, -v198
	v_fma_f16 v172, v172, 0x39e0, -v199
	;; [unrolled: 1-line block ×4, first 2 shown]
	v_mul_f16_e32 v193, 0x2b26, v194
	v_mul_f16_e32 v176, 0x2b26, v176
	v_pack_b32_f16 v184, v195, v196
	v_add_f16_e32 v183, v185, v183
	v_add_f16_e32 v172, v172, v197
	v_fmac_f16_e32 v180, 0x370e, v202
	v_fma_f16 v185, v186, 0x39e0, -v193
	v_fma_f16 v168, v168, 0x39e0, -v176
	;; [unrolled: 1-line block ×4, first 2 shown]
	v_fmac_f16_e32 v181, 0x370e, v205
	v_add_f16_e32 v185, v185, v210
	v_add_f16_e32 v168, v168, v211
	v_fmac_f16_e32 v176, 0x370e, v217
	v_fmac_f16_e32 v166, 0x370e, v215
	ds_write2_b32 v137, v182, v184 offset0:36 offset1:232
	v_sub_f16_e32 v182, v183, v181
	v_add_f16_e32 v184, v180, v172
	v_sub_f16_e32 v186, v185, v176
	v_add_f16_e32 v189, v166, v168
	v_add_f16_e32 v181, v181, v183
	v_sub_f16_e32 v172, v172, v180
	v_add_f16_e32 v176, v176, v185
	v_sub_f16_e32 v166, v168, v166
	v_pack_b32_f16 v168, v182, v184
	v_lshrrev_b32_e32 v182, 16, v167
	v_pack_b32_f16 v180, v186, v189
	v_pack_b32_f16 v172, v181, v172
	;; [unrolled: 1-line block ×3, first 2 shown]
	v_lshrrev_b32_e32 v176, 16, v173
	v_lshrrev_b32_e32 v186, 16, v179
	v_add_f16_e32 v174, v190, v174
	v_lshrrev_b32_e32 v185, 16, v175
	v_lshrrev_b32_e32 v190, 16, v169
	v_sub_f16_e32 v188, v191, v188
	v_sub_f16_e32 v178, v178, v224
	v_add_f16_e32 v187, v187, v192
	v_sub_f16_e32 v197, v220, v222
	v_add_f16_e32 v198, v223, v221
	v_pack_b32_f16 v170, v219, v170
	v_pack_b32_f16 v174, v178, v174
	s_waitcnt vmcnt(1)
	v_mul_f16_sdwa v181, v182, v28 dst_sel:DWORD dst_unused:UNUSED_PAD src0_sel:DWORD src1_sel:WORD_1
	v_mul_f16_sdwa v183, v167, v28 dst_sel:DWORD dst_unused:UNUSED_PAD src0_sel:DWORD src1_sel:WORD_1
	v_mul_f16_sdwa v184, v176, v29 dst_sel:DWORD dst_unused:UNUSED_PAD src0_sel:DWORD src1_sel:WORD_1
	v_sub_f16_e32 v178, v206, v207
	v_pack_b32_f16 v187, v188, v187
	v_fma_f16 v167, v167, v28, -v181
	v_lshrrev_b32_e32 v181, 16, v177
	v_fmac_f16_e32 v183, v182, v28
	v_fma_f16 v182, v173, v29, -v184
	v_mul_f16_sdwa v184, v185, v30 dst_sel:DWORD dst_unused:UNUSED_PAD src0_sel:DWORD src1_sel:WORD_1
	s_waitcnt vmcnt(0)
	v_mul_f16_sdwa v193, v186, v88 dst_sel:DWORD dst_unused:UNUSED_PAD src0_sel:DWORD src1_sel:WORD_1
	v_mul_f16_sdwa v173, v173, v29 dst_sel:DWORD dst_unused:UNUSED_PAD src0_sel:DWORD src1_sel:WORD_1
	;; [unrolled: 1-line block ×5, first 2 shown]
	v_fma_f16 v193, v179, v88, -v193
	v_mul_f16_sdwa v179, v179, v88 dst_sel:DWORD dst_unused:UNUSED_PAD src0_sel:DWORD src1_sel:WORD_1
	v_fma_f16 v184, v175, v30, -v184
	v_mul_f16_sdwa v175, v175, v30 dst_sel:DWORD dst_unused:UNUSED_PAD src0_sel:DWORD src1_sel:WORD_1
	;; [unrolled: 2-line block ×3, first 2 shown]
	v_fma_f16 v169, v169, v89, -v194
	v_fmac_f16_e32 v173, v176, v29
	v_fmac_f16_e32 v195, v190, v89
	;; [unrolled: 1-line block ×5, first 2 shown]
	v_add_f16_e32 v176, v167, v169
	v_add_f16_e32 v181, v182, v193
	;; [unrolled: 1-line block ×7, first 2 shown]
	v_pack_b32_f16 v188, v197, v198
	v_add_f16_e32 v196, v186, v185
	v_add_f16_e32 v191, v190, v191
	;; [unrolled: 1-line block ×5, first 2 shown]
	v_add_f16_sdwa v171, v171, v192 dst_sel:DWORD dst_unused:UNUSED_PAD src0_sel:WORD_1 src1_sel:DWORD
	v_pack_b32_f16 v178, v178, v196
	v_pack_b32_f16 v196, v199, v171
	ds_write2_b32 v138, v168, v180 offset0:52 offset1:248
	ds_write2_b32 v133, v172, v166 offset0:4 offset1:200
	;; [unrolled: 1-line block ×5, first 2 shown]
	v_sub_f16_e32 v168, v182, v193
	v_sub_f16_e32 v170, v189, v184
	;; [unrolled: 1-line block ×9, first 2 shown]
	v_add_f16_e32 v179, v170, v168
	v_sub_f16_e32 v167, v183, v195
	v_sub_f16_e32 v173, v181, v176
	v_sub_f16_e32 v176, v186, v185
	v_sub_f16_e32 v180, v170, v168
	v_sub_f16_e32 v170, v166, v170
	v_sub_f16_e32 v168, v168, v166
	v_add_f16_e32 v166, v179, v166
	v_sub_f16_e32 v179, v172, v169
	v_mul_f16_e32 v174, 0x3a52, v174
	v_mul_f16_e32 v182, 0x2b26, v175
	;; [unrolled: 1-line block ×4, first 2 shown]
	v_add_f16_e32 v181, v172, v169
	v_sub_f16_e32 v172, v167, v172
	v_sub_f16_e32 v169, v169, v167
	v_fmamk_f16 v175, v175, 0x2b26, v174
	v_fma_f16 v182, v173, 0x39e0, -v182
	v_fma_f16 v173, v173, 0xb9e0, -v174
	v_fmamk_f16 v174, v178, 0x2b26, v177
	v_mul_f16_e32 v178, 0xb846, v180
	v_fma_f16 v180, v176, 0x39e0, -v183
	v_fma_f16 v176, v176, 0xb9e0, -v177
	v_mul_f16_e32 v177, 0xbb00, v168
	v_mul_f16_e32 v179, 0xb846, v179
	v_add_f16_e32 v167, v181, v167
	v_fmamk_f16 v181, v191, 0xbcab, v199
	v_fmamk_f16 v171, v192, 0xbcab, v171
	v_fma_f16 v168, v168, 0x3b00, -v178
	v_mul_f16_e32 v183, 0xbb00, v169
	v_fmamk_f16 v178, v170, 0x3574, v178
	v_fmac_f16_e32 v177, 0xb574, v170
	v_fma_f16 v169, v169, 0x3b00, -v179
	v_fmamk_f16 v170, v172, 0x3574, v179
	v_fmac_f16_e32 v183, 0xb574, v172
	v_add_f16_e32 v172, v175, v181
	v_add_f16_e32 v175, v182, v181
	;; [unrolled: 1-line block ×3, first 2 shown]
	v_fmac_f16_e32 v178, 0x370e, v166
	v_fmac_f16_e32 v169, 0x370e, v167
	;; [unrolled: 1-line block ×3, first 2 shown]
	v_add_f16_e32 v173, v173, v181
	v_add_f16_e32 v179, v180, v171
	v_add_f16_e32 v171, v176, v171
	v_fmac_f16_e32 v168, 0x370e, v166
	v_fmac_f16_e32 v177, 0x370e, v166
	;; [unrolled: 1-line block ×3, first 2 shown]
	v_sub_f16_e32 v166, v175, v169
	v_add_f16_e32 v167, v169, v175
	v_add_f16_e32 v169, v170, v172
	v_sub_f16_e32 v175, v174, v178
	v_add_f16_e32 v176, v168, v179
	v_sub_f16_e32 v168, v179, v168
	;; [unrolled: 2-line block ×3, first 2 shown]
	v_pack_b32_f16 v169, v169, v175
	v_sub_f16_e32 v175, v171, v177
	v_add_f16_e32 v171, v177, v171
	v_sub_f16_e32 v170, v172, v170
	v_add_f16_e32 v172, v178, v174
	ds_write_b32 v124, v169 offset:5488
	v_pack_b32_f16 v169, v179, v175
	v_pack_b32_f16 v166, v166, v176
	;; [unrolled: 1-line block ×5, first 2 shown]
	ds_write_b32 v124, v169 offset:8624
	ds_write_b32 v124, v166 offset:11760
	;; [unrolled: 1-line block ×5, first 2 shown]
	s_waitcnt lgkmcnt(0)
	s_barrier
	buffer_gl0_inv
	global_load_dword v76, v[76:77], off offset:1472
	v_add_co_u32 v166, vcc_lo, 0x55c0, v139
	v_add_co_ci_u32_e32 v167, vcc_lo, 0, v140, vcc_lo
	s_clause 0x1
	global_load_dword v77, v[166:167], off offset:784
	global_load_dword v180, v[166:167], off offset:1568
	v_add_co_u32 v166, vcc_lo, 0x5800, v139
	v_add_co_ci_u32_e32 v167, vcc_lo, 0, v140, vcc_lo
	v_add_co_u32 v168, vcc_lo, 0x6000, v139
	v_add_co_ci_u32_e32 v169, vcc_lo, 0, v140, vcc_lo
	s_clause 0x1
	global_load_dword v181, v[166:167], off offset:1776
	global_load_dword v182, v[168:169], off offset:512
	v_add_co_u32 v166, vcc_lo, 0x6800, v139
	v_add_co_ci_u32_e32 v167, vcc_lo, 0, v140, vcc_lo
	s_clause 0x1
	global_load_dword v183, v[166:167], off offset:1600
	global_load_dword v184, v[166:167], off offset:816
	v_add_co_u32 v170, vcc_lo, 0x7800, v139
	v_add_co_ci_u32_e32 v171, vcc_lo, 0, v140, vcc_lo
	v_add_co_u32 v172, vcc_lo, 0x7000, v139
	v_add_co_ci_u32_e32 v173, vcc_lo, 0, v140, vcc_lo
	s_clause 0x1
	global_load_dword v185, v[170:171], off offset:640
	global_load_dword v186, v[172:173], off offset:1904
	v_add_co_u32 v174, vcc_lo, 0x8000, v139
	v_add_co_ci_u32_e32 v175, vcc_lo, 0, v140, vcc_lo
	v_add_co_u32 v176, vcc_lo, 0x9000, v139
	v_add_co_ci_u32_e32 v177, vcc_lo, 0, v140, vcc_lo
	v_add_co_u32 v178, vcc_lo, 0x9800, v139
	v_add_co_ci_u32_e32 v179, vcc_lo, 0, v140, vcc_lo
	s_clause 0x4
	global_load_dword v187, v[174:175], off offset:1728
	global_load_dword v188, v[176:177], off offset:768
	;; [unrolled: 1-line block ×5, first 2 shown]
	v_add_co_u32 v176, vcc_lo, 0x8800, v139
	v_add_co_ci_u32_e32 v177, vcc_lo, 0, v140, vcc_lo
	s_clause 0x9
	global_load_dword v192, v[176:177], off offset:2032
	global_load_dword v193, v[178:179], off offset:1856
	;; [unrolled: 1-line block ×10, first 2 shown]
	v_add_co_u32 v166, vcc_lo, 0xa000, v139
	v_add_co_ci_u32_e32 v167, vcc_lo, 0, v140, vcc_lo
	s_clause 0x1
	global_load_dword v202, v[166:167], off offset:592
	global_load_dword v203, v[174:175], off offset:160
	v_add_co_u32 v139, vcc_lo, 0xa800, v139
	v_add_co_ci_u32_e32 v140, vcc_lo, 0, v140, vcc_lo
	s_clause 0x1
	global_load_dword v204, v[139:140], off offset:112
	global_load_dword v205, v[166:167], off offset:1376
	ds_read2_b32 v[139:140], v124 offset1:196
	s_waitcnt lgkmcnt(0)
	v_lshrrev_b32_e32 v166, 16, v139
	s_waitcnt vmcnt(27)
	v_mul_f16_sdwa v167, v139, v76 dst_sel:DWORD dst_unused:UNUSED_PAD src0_sel:DWORD src1_sel:WORD_1
	v_mul_f16_sdwa v168, v166, v76 dst_sel:DWORD dst_unused:UNUSED_PAD src0_sel:DWORD src1_sel:WORD_1
	v_fmac_f16_e32 v167, v166, v76
	v_fma_f16 v76, v139, v76, -v168
	s_waitcnt vmcnt(26)
	v_mul_f16_sdwa v170, v140, v77 dst_sel:DWORD dst_unused:UNUSED_PAD src0_sel:DWORD src1_sel:WORD_1
	v_pack_b32_f16 v76, v76, v167
	ds_write_b32 v124, v76
	ds_read2_b32 v[166:167], v114 offset0:8 offset1:204
	ds_read2_b32 v[168:169], v132 offset0:16 offset1:212
	v_lshrrev_b32_e32 v76, 16, v140
	v_mul_f16_sdwa v139, v76, v77 dst_sel:DWORD dst_unused:UNUSED_PAD src0_sel:DWORD src1_sel:WORD_1
	v_fmac_f16_e32 v170, v76, v77
	v_fma_f16 v173, v140, v77, -v139
	ds_read2_b32 v[76:77], v131 offset0:32 offset1:228
	v_pack_b32_f16 v173, v173, v170
	s_waitcnt lgkmcnt(2)
	v_lshrrev_b32_e32 v171, 16, v166
	s_waitcnt vmcnt(25)
	v_mul_f16_sdwa v172, v166, v180 dst_sel:DWORD dst_unused:UNUSED_PAD src0_sel:DWORD src1_sel:WORD_1
	s_waitcnt lgkmcnt(1)
	v_lshrrev_b32_e32 v174, 16, v168
	s_waitcnt vmcnt(23)
	v_mul_f16_sdwa v176, v168, v182 dst_sel:DWORD dst_unused:UNUSED_PAD src0_sel:DWORD src1_sel:WORD_1
	v_mul_f16_sdwa v178, v167, v181 dst_sel:DWORD dst_unused:UNUSED_PAD src0_sel:DWORD src1_sel:WORD_1
	;; [unrolled: 1-line block ×3, first 2 shown]
	v_fmac_f16_e32 v172, v171, v180
	v_lshrrev_b32_e32 v171, 16, v167
	v_mul_f16_sdwa v177, v174, v182 dst_sel:DWORD dst_unused:UNUSED_PAD src0_sel:DWORD src1_sel:WORD_1
	v_fmac_f16_e32 v176, v174, v182
	v_fma_f16 v175, v166, v180, -v139
	ds_read2_b32 v[139:140], v112 offset0:24 offset1:220
	v_mul_f16_sdwa v166, v171, v181 dst_sel:DWORD dst_unused:UNUSED_PAD src0_sel:DWORD src1_sel:WORD_1
	v_fma_f16 v168, v168, v182, -v177
	v_fmac_f16_e32 v178, v171, v181
	ds_read2_b32 v[170:171], v110 offset0:40 offset1:236
	v_pack_b32_f16 v172, v175, v172
	v_fma_f16 v179, v167, v181, -v166
	ds_read2_b32 v[166:167], v130 offset0:48 offset1:244
	v_add_nc_u32_e32 v174, 0x300, v124
	v_pack_b32_f16 v168, v168, v176
	v_add_nc_u32_e32 v176, 0x900, v124
	v_pack_b32_f16 v175, v179, v178
	s_waitcnt lgkmcnt(3)
	v_lshrrev_b32_e32 v177, 16, v76
	ds_write2_b32 v174, v173, v172 offset0:4 offset1:200
	s_waitcnt vmcnt(22)
	v_mul_f16_sdwa v178, v76, v183 dst_sel:DWORD dst_unused:UNUSED_PAD src0_sel:DWORD src1_sel:WORD_1
	ds_read2_b32 v[172:173], v129 offset1:196
	ds_write2_b32 v176, v175, v168 offset0:12 offset1:208
	v_mul_f16_sdwa v168, v177, v183 dst_sel:DWORD dst_unused:UNUSED_PAD src0_sel:DWORD src1_sel:WORD_1
	v_fmac_f16_e32 v178, v177, v183
	s_waitcnt lgkmcnt(5)
	v_lshrrev_b32_e32 v174, 16, v140
	s_waitcnt vmcnt(21)
	v_mul_f16_sdwa v176, v140, v184 dst_sel:DWORD dst_unused:UNUSED_PAD src0_sel:DWORD src1_sel:WORD_1
	v_fma_f16 v76, v76, v183, -v168
	ds_read2_b32 v[182:183], v105 offset0:24 offset1:220
	s_waitcnt vmcnt(19) lgkmcnt(5)
	v_mul_f16_sdwa v180, v171, v186 dst_sel:DWORD dst_unused:UNUSED_PAD src0_sel:DWORD src1_sel:WORD_1
	v_mul_f16_sdwa v177, v174, v184 dst_sel:DWORD dst_unused:UNUSED_PAD src0_sel:DWORD src1_sel:WORD_1
	v_fmac_f16_e32 v176, v174, v184
	s_waitcnt lgkmcnt(4)
	v_lshrrev_b32_e32 v168, 16, v166
	v_pack_b32_f16 v76, v76, v178
	v_mul_f16_sdwa v178, v166, v185 dst_sel:DWORD dst_unused:UNUSED_PAD src0_sel:DWORD src1_sel:WORD_1
	v_fma_f16 v140, v140, v184, -v177
	v_lshrrev_b32_e32 v177, 16, v171
	v_mul_f16_sdwa v179, v168, v185 dst_sel:DWORD dst_unused:UNUSED_PAD src0_sel:DWORD src1_sel:WORD_1
	ds_read2_b32 v[174:175], v109 offset0:56 offset1:252
	v_fmac_f16_e32 v178, v168, v185
	v_pack_b32_f16 v140, v140, v176
	v_mul_f16_sdwa v181, v177, v186 dst_sel:DWORD dst_unused:UNUSED_PAD src0_sel:DWORD src1_sel:WORD_1
	v_fma_f16 v166, v166, v185, -v179
	v_fmac_f16_e32 v180, v177, v186
	ds_read2_b32 v[176:177], v128 offset0:16 offset1:212
	s_waitcnt lgkmcnt(4)
	v_lshrrev_b32_e32 v184, 16, v172
	v_fma_f16 v168, v171, v186, -v181
	v_pack_b32_f16 v166, v166, v178
	ds_read2_b32 v[178:179], v107 offset0:8 offset1:204
	v_add_nc_u32_e32 v171, 0x1500, v124
	s_waitcnt vmcnt(18)
	v_mul_f16_sdwa v206, v172, v187 dst_sel:DWORD dst_unused:UNUSED_PAD src0_sel:DWORD src1_sel:WORD_1
	v_pack_b32_f16 v168, v168, v180
	ds_read2_b32 v[180:181], v125 offset0:32 offset1:228
	v_mul_f16_sdwa v207, v184, v187 dst_sel:DWORD dst_unused:UNUSED_PAD src0_sel:DWORD src1_sel:WORD_1
	v_add_nc_u32_e32 v185, 0x2100, v124
	v_fmac_f16_e32 v206, v184, v187
	ds_write2_b32 v171, v140, v76 offset0:28 offset1:224
	ds_write2_b32 v185, v168, v166 offset0:44 offset1:240
	v_fma_f16 v172, v172, v187, -v207
	s_waitcnt lgkmcnt(5)
	v_lshrrev_b32_e32 v186, 16, v175
	s_waitcnt vmcnt(14)
	v_mul_f16_sdwa v208, v175, v191 dst_sel:DWORD dst_unused:UNUSED_PAD src0_sel:DWORD src1_sel:WORD_1
	s_waitcnt lgkmcnt(4)
	v_lshrrev_b32_e32 v76, 16, v176
	v_pack_b32_f16 v140, v172, v206
	v_mul_f16_sdwa v168, v176, v188 dst_sel:DWORD dst_unused:UNUSED_PAD src0_sel:DWORD src1_sel:WORD_1
	v_mul_f16_sdwa v209, v186, v191 dst_sel:DWORD dst_unused:UNUSED_PAD src0_sel:DWORD src1_sel:WORD_1
	s_waitcnt lgkmcnt(3)
	v_lshrrev_b32_e32 v171, 16, v179
	v_mul_f16_sdwa v172, v76, v188 dst_sel:DWORD dst_unused:UNUSED_PAD src0_sel:DWORD src1_sel:WORD_1
	s_waitcnt vmcnt(13)
	v_mul_f16_sdwa v184, v179, v192 dst_sel:DWORD dst_unused:UNUSED_PAD src0_sel:DWORD src1_sel:WORD_1
	v_fmac_f16_e32 v168, v76, v188
	v_fmac_f16_e32 v208, v186, v191
	v_mul_f16_sdwa v76, v171, v192 dst_sel:DWORD dst_unused:UNUSED_PAD src0_sel:DWORD src1_sel:WORD_1
	v_fma_f16 v172, v176, v188, -v172
	s_waitcnt lgkmcnt(2)
	v_lshrrev_b32_e32 v176, 16, v180
	v_fmac_f16_e32 v184, v171, v192
	v_lshrrev_b32_e32 v171, 16, v183
	v_fma_f16 v76, v179, v192, -v76
	s_waitcnt vmcnt(12)
	v_mul_f16_sdwa v179, v180, v193 dst_sel:DWORD dst_unused:UNUSED_PAD src0_sel:DWORD src1_sel:WORD_1
	v_mul_f16_sdwa v185, v176, v193 dst_sel:DWORD dst_unused:UNUSED_PAD src0_sel:DWORD src1_sel:WORD_1
	v_fma_f16 v175, v175, v191, -v209
	s_waitcnt vmcnt(7)
	v_mul_f16_sdwa v186, v183, v198 dst_sel:DWORD dst_unused:UNUSED_PAD src0_sel:DWORD src1_sel:WORD_1
	v_mul_f16_sdwa v187, v171, v198 dst_sel:DWORD dst_unused:UNUSED_PAD src0_sel:DWORD src1_sel:WORD_1
	v_pack_b32_f16 v168, v172, v168
	v_fmac_f16_e32 v179, v176, v193
	v_fma_f16 v172, v180, v193, -v185
	v_pack_b32_f16 v166, v175, v208
	v_add_nc_u32_e32 v175, 0x2d80, v124
	v_fmac_f16_e32 v186, v171, v198
	v_fma_f16 v171, v183, v198, -v187
	v_pack_b32_f16 v172, v172, v179
	v_lshrrev_b32_e32 v179, 16, v169
	v_pack_b32_f16 v76, v76, v184
	v_add_nc_u32_e32 v176, 0x3a00, v124
	v_pack_b32_f16 v171, v171, v186
	v_add_nc_u32_e32 v180, 0x4600, v124
	ds_write2_b32 v175, v166, v140 offset0:28 offset1:224
	ds_write2_b32 v176, v76, v168 offset0:12 offset1:208
	s_waitcnt vmcnt(6)
	v_mul_f16_sdwa v76, v179, v199 dst_sel:DWORD dst_unused:UNUSED_PAD src0_sel:DWORD src1_sel:WORD_1
	v_lshrrev_b32_e32 v140, 16, v77
	v_lshrrev_b32_e32 v166, 16, v167
	ds_write2_b32 v180, v171, v172 offset0:28 offset1:224
	v_mul_f16_sdwa v168, v169, v199 dst_sel:DWORD dst_unused:UNUSED_PAD src0_sel:DWORD src1_sel:WORD_1
	v_fma_f16 v76, v169, v199, -v76
	v_mul_f16_sdwa v169, v140, v194 dst_sel:DWORD dst_unused:UNUSED_PAD src0_sel:DWORD src1_sel:WORD_1
	v_mul_f16_sdwa v171, v77, v194 dst_sel:DWORD dst_unused:UNUSED_PAD src0_sel:DWORD src1_sel:WORD_1
	s_waitcnt vmcnt(5)
	v_mul_f16_sdwa v172, v166, v200 dst_sel:DWORD dst_unused:UNUSED_PAD src0_sel:DWORD src1_sel:WORD_1
	v_lshrrev_b32_e32 v175, 16, v173
	v_fmac_f16_e32 v168, v179, v199
	v_fma_f16 v169, v77, v194, -v169
	v_fmac_f16_e32 v171, v140, v194
	v_fma_f16 v140, v167, v200, -v172
	v_mul_f16_sdwa v167, v167, v200 dst_sel:DWORD dst_unused:UNUSED_PAD src0_sel:DWORD src1_sel:WORD_1
	v_mul_f16_sdwa v77, v175, v195 dst_sel:DWORD dst_unused:UNUSED_PAD src0_sel:DWORD src1_sel:WORD_1
	;; [unrolled: 1-line block ×3, first 2 shown]
	v_lshrrev_b32_e32 v176, 16, v177
	v_lshrrev_b32_e32 v179, 16, v139
	v_fmac_f16_e32 v167, v166, v200
	v_fma_f16 v166, v173, v195, -v77
	v_fmac_f16_e32 v172, v175, v195
	v_mul_f16_sdwa v77, v176, v189 dst_sel:DWORD dst_unused:UNUSED_PAD src0_sel:DWORD src1_sel:WORD_1
	s_waitcnt vmcnt(4)
	v_mul_f16_sdwa v173, v179, v201 dst_sel:DWORD dst_unused:UNUSED_PAD src0_sel:DWORD src1_sel:WORD_1
	v_mul_f16_sdwa v175, v139, v201 dst_sel:DWORD dst_unused:UNUSED_PAD src0_sel:DWORD src1_sel:WORD_1
	;; [unrolled: 1-line block ×3, first 2 shown]
	v_pack_b32_f16 v76, v76, v168
	v_fma_f16 v177, v177, v189, -v77
	v_fma_f16 v77, v139, v201, -v173
	v_fmac_f16_e32 v175, v179, v201
	v_lshrrev_b32_e32 v183, 16, v181
	v_lshrrev_b32_e32 v168, 16, v170
	v_fmac_f16_e32 v180, v176, v189
	s_waitcnt vmcnt(3)
	v_mul_f16_sdwa v173, v181, v202 dst_sel:DWORD dst_unused:UNUSED_PAD src0_sel:DWORD src1_sel:WORD_1
	v_pack_b32_f16 v77, v77, v175
	v_mul_f16_sdwa v139, v183, v202 dst_sel:DWORD dst_unused:UNUSED_PAD src0_sel:DWORD src1_sel:WORD_1
	v_lshrrev_b32_e32 v175, 16, v174
	v_mul_f16_sdwa v176, v168, v197 dst_sel:DWORD dst_unused:UNUSED_PAD src0_sel:DWORD src1_sel:WORD_1
	v_mul_f16_sdwa v179, v170, v197 dst_sel:DWORD dst_unused:UNUSED_PAD src0_sel:DWORD src1_sel:WORD_1
	ds_write2_b32 v136, v76, v77 offset0:20 offset1:216
	ds_read2_b32 v[76:77], v104 offset0:40 offset1:236
	v_fma_f16 v139, v181, v202, -v139
	s_waitcnt vmcnt(2)
	v_mul_f16_sdwa v181, v175, v203 dst_sel:DWORD dst_unused:UNUSED_PAD src0_sel:DWORD src1_sel:WORD_1
	v_fmac_f16_e32 v173, v183, v202
	v_mul_f16_sdwa v183, v174, v203 dst_sel:DWORD dst_unused:UNUSED_PAD src0_sel:DWORD src1_sel:WORD_1
	v_fma_f16 v170, v170, v197, -v176
	v_fmac_f16_e32 v179, v168, v197
	v_fma_f16 v168, v174, v203, -v181
	v_lshrrev_b32_e32 v174, 16, v178
	v_pack_b32_f16 v169, v169, v171
	v_fmac_f16_e32 v183, v175, v203
	v_pack_b32_f16 v170, v170, v179
	v_lshrrev_b32_e32 v175, 16, v182
	v_mul_f16_sdwa v171, v174, v196 dst_sel:DWORD dst_unused:UNUSED_PAD src0_sel:DWORD src1_sel:WORD_1
	v_mul_f16_sdwa v176, v178, v196 dst_sel:DWORD dst_unused:UNUSED_PAD src0_sel:DWORD src1_sel:WORD_1
	v_pack_b32_f16 v140, v140, v167
	v_mul_f16_sdwa v181, v182, v190 dst_sel:DWORD dst_unused:UNUSED_PAD src0_sel:DWORD src1_sel:WORD_1
	ds_write2_b32 v137, v169, v170 offset0:36 offset1:232
	v_fma_f16 v169, v178, v196, -v171
	v_mul_f16_sdwa v179, v175, v190 dst_sel:DWORD dst_unused:UNUSED_PAD src0_sel:DWORD src1_sel:WORD_1
	s_waitcnt lgkmcnt(1)
	v_lshrrev_b32_e32 v167, 16, v76
	v_lshrrev_b32_e32 v171, 16, v77
	v_fmac_f16_e32 v176, v174, v196
	v_pack_b32_f16 v166, v166, v172
	s_waitcnt vmcnt(0)
	v_mul_f16_sdwa v172, v76, v205 dst_sel:DWORD dst_unused:UNUSED_PAD src0_sel:DWORD src1_sel:WORD_1
	v_mul_f16_sdwa v174, v167, v205 dst_sel:DWORD dst_unused:UNUSED_PAD src0_sel:DWORD src1_sel:WORD_1
	v_fmac_f16_e32 v181, v175, v190
	v_mul_f16_sdwa v175, v171, v204 dst_sel:DWORD dst_unused:UNUSED_PAD src0_sel:DWORD src1_sel:WORD_1
	v_mul_f16_sdwa v178, v77, v204 dst_sel:DWORD dst_unused:UNUSED_PAD src0_sel:DWORD src1_sel:WORD_1
	v_fma_f16 v170, v182, v190, -v179
	v_fmac_f16_e32 v172, v167, v205
	v_fma_f16 v76, v76, v205, -v174
	v_fma_f16 v77, v77, v204, -v175
	v_fmac_f16_e32 v178, v171, v204
	v_pack_b32_f16 v168, v168, v183
	v_pack_b32_f16 v169, v169, v176
	;; [unrolled: 1-line block ×7, first 2 shown]
	ds_write2_b32 v138, v140, v168 offset0:52 offset1:248
	ds_write2_b32 v133, v166, v169 offset0:4 offset1:200
	;; [unrolled: 1-line block ×4, first 2 shown]
	ds_write_b32 v124, v77 offset:21168
	s_waitcnt lgkmcnt(0)
	s_barrier
	buffer_gl0_inv
	ds_read2_b32 v[76:77], v132 offset0:16 offset1:212
	ds_read2_b32 v[139:140], v125 offset0:32 offset1:228
	;; [unrolled: 1-line block ×5, first 2 shown]
	ds_read2_b32 v[172:173], v129 offset1:196
	ds_read2_b32 v[174:175], v112 offset0:24 offset1:220
	ds_read2_b32 v[176:177], v104 offset0:40 offset1:236
	;; [unrolled: 1-line block ×4, first 2 shown]
	s_waitcnt lgkmcnt(8)
	v_add_f16_e32 v182, v76, v139
	v_add_f16_sdwa v183, v76, v139 dst_sel:DWORD dst_unused:UNUSED_PAD src0_sel:WORD_1 src1_sel:WORD_1
	s_waitcnt lgkmcnt(6)
	v_add_f16_e32 v190, v166, v168
	v_add_f16_sdwa v191, v166, v168 dst_sel:DWORD dst_unused:UNUSED_PAD src0_sel:WORD_1 src1_sel:WORD_1
	v_sub_f16_e32 v192, v166, v168
	v_sub_f16_sdwa v193, v166, v168 dst_sel:DWORD dst_unused:UNUSED_PAD src0_sel:WORD_1 src1_sel:WORD_1
	v_add_f16_e32 v194, v167, v169
	v_add_f16_sdwa v195, v167, v169 dst_sel:DWORD dst_unused:UNUSED_PAD src0_sel:WORD_1 src1_sel:WORD_1
	v_sub_f16_e32 v196, v167, v169
	v_sub_f16_sdwa v197, v167, v169 dst_sel:DWORD dst_unused:UNUSED_PAD src0_sel:WORD_1 src1_sel:WORD_1
	ds_read2_b32 v[168:169], v124 offset1:196
	v_sub_f16_e32 v184, v76, v139
	v_sub_f16_sdwa v185, v76, v139 dst_sel:DWORD dst_unused:UNUSED_PAD src0_sel:WORD_1 src1_sel:WORD_1
	v_add_f16_e32 v186, v77, v140
	v_add_f16_sdwa v187, v77, v140 dst_sel:DWORD dst_unused:UNUSED_PAD src0_sel:WORD_1 src1_sel:WORD_1
	v_sub_f16_e32 v188, v77, v140
	v_sub_f16_sdwa v189, v77, v140 dst_sel:DWORD dst_unused:UNUSED_PAD src0_sel:WORD_1 src1_sel:WORD_1
	s_waitcnt lgkmcnt(5)
	v_add_f16_e32 v198, v170, v172
	v_add_f16_sdwa v199, v170, v172 dst_sel:DWORD dst_unused:UNUSED_PAD src0_sel:WORD_1 src1_sel:WORD_1
	v_sub_f16_e32 v200, v172, v170
	v_sub_f16_sdwa v201, v172, v170 dst_sel:DWORD dst_unused:UNUSED_PAD src0_sel:WORD_1 src1_sel:WORD_1
	s_waitcnt lgkmcnt(3)
	v_add_f16_e32 v206, v174, v176
	v_add_f16_sdwa v207, v174, v176 dst_sel:DWORD dst_unused:UNUSED_PAD src0_sel:WORD_1 src1_sel:WORD_1
	v_sub_f16_e32 v208, v174, v176
	v_sub_f16_sdwa v174, v174, v176 dst_sel:DWORD dst_unused:UNUSED_PAD src0_sel:WORD_1 src1_sel:WORD_1
	v_add_f16_e32 v140, v175, v177
	v_add_f16_sdwa v77, v175, v177 dst_sel:DWORD dst_unused:UNUSED_PAD src0_sel:WORD_1 src1_sel:WORD_1
	v_sub_f16_e32 v139, v175, v177
	v_sub_f16_sdwa v76, v175, v177 dst_sel:DWORD dst_unused:UNUSED_PAD src0_sel:WORD_1 src1_sel:WORD_1
	s_waitcnt lgkmcnt(1)
	v_add_f16_e32 v175, v178, v180
	v_add_f16_sdwa v176, v178, v180 dst_sel:DWORD dst_unused:UNUSED_PAD src0_sel:WORD_1 src1_sel:WORD_1
	v_sub_f16_e32 v177, v178, v180
	v_sub_f16_sdwa v178, v178, v180 dst_sel:DWORD dst_unused:UNUSED_PAD src0_sel:WORD_1 src1_sel:WORD_1
	v_add_f16_e32 v180, v179, v181
	v_add_f16_sdwa v166, v179, v181 dst_sel:DWORD dst_unused:UNUSED_PAD src0_sel:WORD_1 src1_sel:WORD_1
	v_sub_f16_e32 v167, v179, v181
	v_add_f16_e32 v209, v190, v182
	v_sub_f16_sdwa v179, v179, v181 dst_sel:DWORD dst_unused:UNUSED_PAD src0_sel:WORD_1 src1_sel:WORD_1
	v_add_f16_e32 v181, v191, v183
	v_sub_f16_e32 v210, v182, v198
	v_sub_f16_e32 v211, v183, v199
	v_add_f16_e32 v209, v198, v209
	v_sub_f16_e32 v198, v198, v190
	v_add_f16_e32 v181, v199, v181
	;; [unrolled: 2-line block ×4, first 2 shown]
	v_sub_f16_e32 v215, v201, v193
	v_sub_f16_e32 v200, v184, v200
	;; [unrolled: 1-line block ×3, first 2 shown]
	v_add_f16_e32 v212, v212, v184
	v_add_f16_e32 v214, v214, v185
	s_waitcnt lgkmcnt(0)
	v_add_f16_e32 v216, v168, v209
	v_add_f16_sdwa v168, v168, v181 dst_sel:DWORD dst_unused:UNUSED_PAD src0_sel:WORD_1 src1_sel:DWORD
	v_mul_f16_e32 v213, 0x3846, v213
	v_mul_f16_e32 v215, 0x3846, v215
	v_sub_f16_e32 v182, v190, v182
	v_mul_f16_e32 v190, 0x2b26, v198
	v_sub_f16_e32 v183, v191, v183
	v_sub_f16_e32 v184, v192, v184
	v_mul_f16_e32 v191, 0x2b26, v199
	v_sub_f16_e32 v185, v193, v185
	v_mul_f16_e32 v211, 0x3a52, v211
	v_fmamk_f16 v209, v209, 0xbcab, v216
	v_fmamk_f16 v181, v181, 0xbcab, v168
	v_fma_f16 v190, v182, 0x39e0, -v190
	v_mul_f16_e32 v192, 0x3b00, v184
	v_fma_f16 v191, v183, 0x39e0, -v191
	v_mul_f16_e32 v193, 0x3b00, v185
	v_fma_f16 v184, v184, 0xbb00, -v213
	v_fma_f16 v185, v185, 0xbb00, -v215
	v_mul_f16_e32 v210, 0x3a52, v210
	v_fmamk_f16 v218, v199, 0x2b26, v211
	v_fma_f16 v183, v183, 0xb9e0, -v211
	v_add_f16_e32 v190, v190, v209
	v_add_f16_e32 v191, v191, v181
	v_fmac_f16_e32 v185, 0xb70e, v214
	v_fmac_f16_e32 v184, 0xb70e, v212
	v_fmamk_f16 v217, v198, 0x2b26, v210
	v_add_f16_e32 v218, v218, v181
	v_fma_f16 v182, v182, 0xb9e0, -v210
	v_fmac_f16_e32 v192, 0x3574, v200
	v_fmac_f16_e32 v193, 0x3574, v201
	v_add_f16_e32 v181, v183, v181
	v_sub_f16_e32 v183, v190, v185
	v_add_f16_e32 v198, v184, v191
	v_add_f16_e32 v202, v171, v173
	v_add_f16_sdwa v203, v171, v173 dst_sel:DWORD dst_unused:UNUSED_PAD src0_sel:WORD_1 src1_sel:WORD_1
	v_sub_f16_e32 v204, v173, v171
	v_sub_f16_sdwa v205, v173, v171 dst_sel:DWORD dst_unused:UNUSED_PAD src0_sel:WORD_1 src1_sel:WORD_1
	ds_read2_b32 v[170:171], v109 offset0:56 offset1:252
	ds_read2_b32 v[172:173], v107 offset0:8 offset1:204
	v_fmamk_f16 v219, v201, 0xb574, v215
	v_add_f16_e32 v182, v182, v209
	v_fmac_f16_e32 v193, 0xb70e, v214
	v_fmac_f16_e32 v192, 0xb70e, v212
	v_pack_b32_f16 v183, v183, v198
	v_add_f16_e32 v198, v194, v186
	v_add_f16_e32 v201, v195, v187
	v_fmamk_f16 v220, v200, 0xb574, v213
	v_add_f16_e32 v217, v217, v209
	v_add_f16_e32 v199, v193, v182
	v_sub_f16_e32 v200, v181, v192
	v_add_f16_e32 v185, v185, v190
	v_sub_f16_e32 v182, v182, v193
	v_add_f16_e32 v190, v202, v198
	v_add_f16_e32 v193, v203, v201
	v_sub_f16_e32 v198, v186, v202
	v_sub_f16_e32 v201, v187, v203
	;; [unrolled: 1-line block ×4, first 2 shown]
	v_pack_b32_f16 v199, v199, v200
	v_add_f16_e32 v181, v192, v181
	v_add_f16_e32 v192, v169, v190
	v_add_f16_sdwa v169, v169, v193 dst_sel:DWORD dst_unused:UNUSED_PAD src0_sel:WORD_1 src1_sel:DWORD
	v_sub_f16_e32 v200, v202, v194
	v_sub_f16_e32 v202, v203, v195
	v_add_f16_e32 v203, v204, v196
	v_add_f16_e32 v210, v205, v197
	v_sub_f16_e32 v204, v188, v204
	v_sub_f16_e32 v205, v189, v205
	v_mul_f16_e32 v198, 0x3a52, v198
	v_mul_f16_e32 v201, 0x3a52, v201
	;; [unrolled: 1-line block ×4, first 2 shown]
	v_fmac_f16_e32 v219, 0xb70e, v214
	v_fmac_f16_e32 v220, 0xb70e, v212
	v_add_f16_e32 v203, v203, v188
	v_add_f16_e32 v210, v210, v189
	v_fmamk_f16 v190, v190, 0xbcab, v192
	v_fmamk_f16 v193, v193, 0xbcab, v169
	;; [unrolled: 1-line block ×6, first 2 shown]
	s_waitcnt lgkmcnt(0)
	v_add_f16_e32 v221, v170, v172
	v_add_f16_sdwa v222, v170, v172 dst_sel:DWORD dst_unused:UNUSED_PAD src0_sel:WORD_1 src1_sel:WORD_1
	v_sub_f16_e32 v223, v172, v170
	v_sub_f16_sdwa v172, v172, v170 dst_sel:DWORD dst_unused:UNUSED_PAD src0_sel:WORD_1 src1_sel:WORD_1
	v_add_f16_e32 v170, v217, v219
	v_sub_f16_e32 v224, v218, v220
	v_pack_b32_f16 v168, v216, v168
	v_sub_f16_e32 v184, v191, v184
	v_sub_f16_e32 v191, v217, v219
	v_add_f16_e32 v216, v220, v218
	v_add_f16_e32 v212, v212, v190
	;; [unrolled: 1-line block ×3, first 2 shown]
	v_fmac_f16_e32 v214, 0xb70e, v210
	v_fmac_f16_e32 v215, 0xb70e, v203
	v_pack_b32_f16 v224, v170, v224
	v_pack_b32_f16 v181, v182, v181
	;; [unrolled: 1-line block ×4, first 2 shown]
	v_add_f16_e32 v185, v212, v214
	v_sub_f16_e32 v191, v213, v215
	v_add_f16_e32 v225, v171, v173
	v_add_f16_sdwa v226, v171, v173 dst_sel:DWORD dst_unused:UNUSED_PAD src0_sel:WORD_1 src1_sel:WORD_1
	v_sub_f16_e32 v227, v173, v171
	v_sub_f16_sdwa v173, v173, v171 dst_sel:DWORD dst_unused:UNUSED_PAD src0_sel:WORD_1 src1_sel:WORD_1
	ds_read2_b32 v[170:171], v114 offset0:8 offset1:204
	s_waitcnt lgkmcnt(0)
	s_barrier
	buffer_gl0_inv
	ds_write2_b32 v141, v168, v224 offset1:1
	ds_write2_b32 v141, v199, v183 offset0:2 offset1:3
	ds_write2_b32 v141, v182, v181 offset0:4 offset1:5
	ds_write_b32 v141, v184 offset:24
	v_pack_b32_f16 v141, v185, v191
	v_sub_f16_e32 v183, v196, v188
	v_sub_f16_e32 v185, v197, v189
	v_pack_b32_f16 v168, v192, v169
	v_sub_f16_e32 v169, v194, v186
	v_mul_f16_e32 v181, 0x2b26, v200
	v_sub_f16_e32 v182, v195, v187
	v_mul_f16_e32 v184, 0x2b26, v202
	v_mul_f16_e32 v186, 0x3b00, v183
	;; [unrolled: 1-line block ×3, first 2 shown]
	v_fma_f16 v181, v169, 0x39e0, -v181
	v_fma_f16 v169, v169, 0xb9e0, -v198
	;; [unrolled: 1-line block ×4, first 2 shown]
	v_fmac_f16_e32 v186, 0x3574, v204
	v_fmac_f16_e32 v187, 0x3574, v205
	v_fma_f16 v183, v183, 0xbb00, -v209
	v_fma_f16 v185, v185, 0xbb00, -v211
	v_add_f16_e32 v169, v169, v190
	v_add_f16_e32 v182, v182, v193
	v_fmac_f16_e32 v187, 0xb70e, v210
	v_fmac_f16_e32 v186, 0xb70e, v203
	v_add_f16_e32 v181, v181, v190
	v_add_f16_e32 v184, v184, v193
	v_fmac_f16_e32 v185, 0xb70e, v210
	v_fmac_f16_e32 v183, 0xb70e, v203
	v_add_f16_e32 v188, v187, v169
	v_sub_f16_e32 v189, v182, v186
	v_sub_f16_e32 v169, v169, v187
	v_add_f16_e32 v182, v186, v182
	ds_write2_b32 v151, v168, v141 offset1:1
	v_sub_f16_e32 v141, v181, v185
	v_add_f16_e32 v168, v183, v184
	v_add_f16_e32 v181, v185, v181
	v_sub_f16_e32 v183, v184, v183
	v_pack_b32_f16 v169, v169, v182
	v_add_f16_e32 v182, v175, v206
	v_add_f16_e32 v184, v176, v207
	;; [unrolled: 1-line block ×3, first 2 shown]
	v_pack_b32_f16 v181, v181, v183
	v_sub_f16_e32 v183, v212, v214
	v_pack_b32_f16 v141, v141, v168
	v_pack_b32_f16 v168, v188, v189
	v_add_f16_e32 v182, v221, v182
	v_sub_f16_e32 v186, v206, v221
	v_add_f16_e32 v184, v222, v184
	v_sub_f16_e32 v188, v207, v222
	v_sub_f16_e32 v191, v223, v177
	v_add_f16_e32 v192, v172, v178
	v_sub_f16_e32 v194, v172, v178
	v_pack_b32_f16 v183, v183, v185
	v_sub_f16_e32 v187, v221, v175
	v_sub_f16_e32 v189, v222, v176
	v_add_f16_e32 v190, v223, v177
	v_sub_f16_e32 v193, v208, v223
	v_sub_f16_e32 v172, v174, v172
	v_add_f16_e32 v192, v192, v174
	v_mul_f16_e32 v186, 0x3a52, v186
	v_add_f16_e32 v195, v170, v182
	v_add_f16_sdwa v170, v170, v184 dst_sel:DWORD dst_unused:UNUSED_PAD src0_sel:WORD_1 src1_sel:DWORD
	v_mul_f16_e32 v188, 0x3a52, v188
	v_mul_f16_e32 v191, 0x3846, v191
	;; [unrolled: 1-line block ×3, first 2 shown]
	ds_write2_b32 v151, v168, v141 offset0:2 offset1:3
	ds_write2_b32 v151, v181, v169 offset0:4 offset1:5
	ds_write_b32 v151, v183 offset:24
	v_sub_f16_e32 v168, v175, v206
	v_sub_f16_e32 v175, v176, v207
	;; [unrolled: 1-line block ×4, first 2 shown]
	v_add_f16_e32 v190, v190, v208
	v_fmamk_f16 v182, v182, 0xbcab, v195
	v_fmamk_f16 v184, v184, 0xbcab, v170
	;; [unrolled: 1-line block ×6, first 2 shown]
	v_mul_f16_e32 v169, 0x2b26, v187
	v_mul_f16_e32 v177, 0x2b26, v189
	;; [unrolled: 1-line block ×4, first 2 shown]
	v_add_f16_e32 v185, v196, v182
	v_add_f16_e32 v196, v197, v184
	v_fmac_f16_e32 v198, 0xb70e, v192
	v_fmac_f16_e32 v199, 0xb70e, v190
	v_fma_f16 v169, v168, 0x39e0, -v169
	v_fma_f16 v168, v168, 0xb9e0, -v186
	v_fma_f16 v177, v175, 0x39e0, -v177
	v_fma_f16 v175, v175, 0xb9e0, -v188
	v_fma_f16 v176, v176, 0xbb00, -v191
	v_fmac_f16_e32 v178, 0x3574, v193
	v_fma_f16 v174, v174, 0xbb00, -v194
	v_fmac_f16_e32 v181, 0x3574, v172
	v_add_f16_e32 v141, v185, v198
	v_sub_f16_e32 v151, v196, v199
	v_add_f16_e32 v169, v169, v182
	v_add_f16_e32 v168, v168, v182
	;; [unrolled: 1-line block ×4, first 2 shown]
	v_fmac_f16_e32 v174, 0xb70e, v192
	v_fmac_f16_e32 v176, 0xb70e, v190
	;; [unrolled: 1-line block ×4, first 2 shown]
	v_pack_b32_f16 v141, v141, v151
	v_sub_f16_e32 v151, v169, v174
	v_add_f16_e32 v177, v176, v172
	v_add_f16_e32 v182, v181, v168
	v_sub_f16_e32 v183, v175, v178
	v_add_f16_e32 v186, v166, v77
	v_add_f16_e32 v169, v174, v169
	v_sub_f16_e32 v168, v168, v181
	v_add_f16_e32 v175, v178, v175
	v_sub_f16_e32 v172, v172, v176
	v_add_f16_e32 v184, v180, v140
	v_pack_b32_f16 v170, v195, v170
	v_pack_b32_f16 v151, v151, v177
	v_pack_b32_f16 v177, v182, v183
	v_add_f16_e32 v182, v226, v186
	v_sub_f16_e32 v181, v225, v180
	v_add_f16_e32 v186, v227, v167
	v_add_f16_e32 v188, v173, v179
	v_pack_b32_f16 v168, v168, v175
	v_pack_b32_f16 v169, v169, v172
	v_add_f16_e32 v174, v225, v184
	v_sub_f16_e32 v178, v140, v225
	v_sub_f16_e32 v183, v77, v226
	;; [unrolled: 1-line block ×7, first 2 shown]
	v_add_f16_e32 v186, v186, v139
	v_add_f16_e32 v188, v188, v76
	ds_write2_b32 v143, v170, v141 offset1:1
	ds_write2_b32 v143, v177, v151 offset0:2 offset1:3
	ds_write2_b32 v143, v169, v168 offset0:4 offset1:5
	v_sub_f16_e32 v140, v180, v140
	v_mul_f16_e32 v168, 0x2b26, v181
	v_sub_f16_e32 v139, v167, v139
	v_sub_f16_e32 v76, v179, v76
	v_add_f16_e32 v176, v171, v174
	v_add_f16_sdwa v171, v171, v182 dst_sel:DWORD dst_unused:UNUSED_PAD src0_sel:WORD_1 src1_sel:DWORD
	v_mul_f16_e32 v178, 0x3a52, v178
	v_mul_f16_e32 v183, 0x3a52, v183
	;; [unrolled: 1-line block ×4, first 2 shown]
	v_sub_f16_e32 v77, v166, v77
	v_mul_f16_e32 v166, 0x2b26, v184
	v_fma_f16 v167, v140, 0x39e0, -v168
	v_mul_f16_e32 v168, 0x3b00, v139
	v_mul_f16_e32 v169, 0x3b00, v76
	v_fmamk_f16 v174, v174, 0xbcab, v176
	v_fmamk_f16 v182, v182, 0xbcab, v171
	;; [unrolled: 1-line block ×6, first 2 shown]
	v_fma_f16 v140, v140, 0xb9e0, -v178
	v_fma_f16 v166, v77, 0x39e0, -v166
	;; [unrolled: 1-line block ×4, first 2 shown]
	v_fmac_f16_e32 v168, 0x3574, v189
	v_fma_f16 v76, v76, 0xbb00, -v190
	v_fmac_f16_e32 v169, 0x3574, v173
	v_add_f16_e32 v175, v191, v174
	v_add_f16_e32 v191, v192, v182
	v_fmac_f16_e32 v193, 0xb70e, v188
	v_fmac_f16_e32 v194, 0xb70e, v186
	v_sub_f16_e32 v172, v185, v198
	v_add_f16_e32 v185, v199, v196
	v_add_f16_e32 v167, v167, v174
	v_add_f16_e32 v140, v140, v174
	v_add_f16_e32 v166, v166, v182
	v_add_f16_e32 v77, v77, v182
	v_fmac_f16_e32 v76, 0xb70e, v188
	v_fmac_f16_e32 v139, 0xb70e, v186
	;; [unrolled: 1-line block ×4, first 2 shown]
	v_add_f16_e32 v192, v175, v193
	v_sub_f16_e32 v195, v191, v194
	v_pack_b32_f16 v141, v172, v185
	v_pack_b32_f16 v170, v176, v171
	v_sub_f16_e32 v171, v167, v76
	v_add_f16_e32 v172, v139, v166
	v_add_f16_e32 v173, v169, v140
	v_sub_f16_e32 v174, v77, v168
	v_add_f16_e32 v76, v76, v167
	v_sub_f16_e32 v140, v140, v169
	v_add_f16_e32 v77, v168, v77
	v_sub_f16_e32 v139, v166, v139
	v_sub_f16_e32 v166, v175, v193
	v_add_f16_e32 v167, v194, v191
	v_pack_b32_f16 v151, v192, v195
	v_pack_b32_f16 v168, v171, v172
	v_pack_b32_f16 v169, v173, v174
	v_pack_b32_f16 v77, v140, v77
	v_pack_b32_f16 v76, v76, v139
	v_pack_b32_f16 v139, v166, v167
	ds_write_b32 v143, v141 offset:24
	ds_write2_b32 v144, v170, v151 offset1:1
	ds_write2_b32 v144, v169, v168 offset0:2 offset1:3
	ds_write2_b32 v144, v76, v77 offset0:4 offset1:5
	ds_write_b32 v144, v139 offset:24
	s_waitcnt lgkmcnt(0)
	s_barrier
	buffer_gl0_inv
	ds_read2_b32 v[76:77], v131 offset0:32 offset1:228
	ds_read2_b32 v[139:140], v109 offset0:56 offset1:252
	ds_read2_b32 v[143:144], v105 offset0:24 offset1:220
	ds_read2_b32 v[166:167], v129 offset1:196
	s_waitcnt lgkmcnt(3)
	v_lshrrev_b32_e32 v141, 16, v76
	v_mul_f16_sdwa v151, v38, v76 dst_sel:DWORD dst_unused:UNUSED_PAD src0_sel:WORD_1 src1_sel:DWORD
	s_waitcnt lgkmcnt(2)
	v_lshrrev_b32_e32 v168, 16, v140
	v_mul_f16_sdwa v169, v39, v140 dst_sel:DWORD dst_unused:UNUSED_PAD src0_sel:WORD_1 src1_sel:DWORD
	;; [unrolled: 3-line block ×3, first 2 shown]
	v_fma_f16 v151, v38, v141, -v151
	v_mul_f16_sdwa v141, v38, v141 dst_sel:DWORD dst_unused:UNUSED_PAD src0_sel:WORD_1 src1_sel:DWORD
	v_fma_f16 v172, v39, v168, -v169
	v_lshrrev_b32_e32 v173, 16, v77
	v_mul_f16_sdwa v174, v39, v168 dst_sel:DWORD dst_unused:UNUSED_PAD src0_sel:WORD_1 src1_sel:DWORD
	ds_read2_b32 v[168:169], v110 offset0:40 offset1:236
	v_fma_f16 v171, v40, v170, -v171
	v_mul_f16_sdwa v170, v40, v170 dst_sel:DWORD dst_unused:UNUSED_PAD src0_sel:WORD_1 src1_sel:DWORD
	v_fmac_f16_e32 v141, v38, v76
	v_lshrrev_b32_e32 v76, 16, v144
	v_mul_f16_sdwa v175, v53, v173 dst_sel:DWORD dst_unused:UNUSED_PAD src0_sel:WORD_1 src1_sel:DWORD
	v_fmac_f16_e32 v174, v39, v140
	ds_read2_b32 v[38:39], v125 offset0:32 offset1:228
	v_fmac_f16_e32 v170, v40, v143
	v_mul_f16_sdwa v140, v55, v76 dst_sel:DWORD dst_unused:UNUSED_PAD src0_sel:WORD_1 src1_sel:DWORD
	v_fmac_f16_e32 v175, v53, v77
	v_mul_f16_sdwa v40, v53, v77 dst_sel:DWORD dst_unused:UNUSED_PAD src0_sel:WORD_1 src1_sel:DWORD
	s_waitcnt lgkmcnt(2)
	v_lshrrev_b32_e32 v77, 16, v166
	v_mul_f16_sdwa v176, v54, v166 dst_sel:DWORD dst_unused:UNUSED_PAD src0_sel:WORD_1 src1_sel:DWORD
	v_fmac_f16_e32 v140, v55, v144
	v_mul_f16_sdwa v144, v55, v144 dst_sel:DWORD dst_unused:UNUSED_PAD src0_sel:WORD_1 src1_sel:DWORD
	v_lshrrev_b32_e32 v143, 16, v167
	v_mul_f16_sdwa v177, v54, v77 dst_sel:DWORD dst_unused:UNUSED_PAD src0_sel:WORD_1 src1_sel:DWORD
	v_fma_f16 v173, v53, v173, -v40
	v_mul_f16_sdwa v40, v51, v167 dst_sel:DWORD dst_unused:UNUSED_PAD src0_sel:WORD_1 src1_sel:DWORD
	v_fma_f16 v55, v55, v76, -v144
	v_fma_f16 v144, v54, v77, -v176
	v_fmac_f16_e32 v177, v54, v166
	s_waitcnt lgkmcnt(1)
	v_lshrrev_b32_e32 v76, 16, v168
	ds_read2_b32 v[53:54], v107 offset0:8 offset1:204
	v_mul_f16_sdwa v178, v51, v143 dst_sel:DWORD dst_unused:UNUSED_PAD src0_sel:WORD_1 src1_sel:DWORD
	v_mul_f16_sdwa v77, v50, v168 dst_sel:DWORD dst_unused:UNUSED_PAD src0_sel:WORD_1 src1_sel:DWORD
	s_waitcnt lgkmcnt(1)
	v_lshrrev_b32_e32 v166, 16, v38
	v_fma_f16 v143, v51, v143, -v40
	v_mul_f16_sdwa v40, v52, v38 dst_sel:DWORD dst_unused:UNUSED_PAD src0_sel:WORD_1 src1_sel:DWORD
	v_mul_f16_sdwa v176, v50, v76 dst_sel:DWORD dst_unused:UNUSED_PAD src0_sel:WORD_1 src1_sel:DWORD
	v_fmac_f16_e32 v178, v51, v167
	v_fma_f16 v167, v50, v76, -v77
	v_lshrrev_b32_e32 v179, 16, v169
	v_mul_f16_sdwa v180, v52, v166 dst_sel:DWORD dst_unused:UNUSED_PAD src0_sel:WORD_1 src1_sel:DWORD
	v_fma_f16 v166, v52, v166, -v40
	v_lshrrev_b32_e32 v40, 16, v39
	v_fmac_f16_e32 v176, v50, v168
	ds_read2_b32 v[50:51], v130 offset0:48 offset1:244
	v_mul_f16_sdwa v168, v47, v179 dst_sel:DWORD dst_unused:UNUSED_PAD src0_sel:WORD_1 src1_sel:DWORD
	v_fmac_f16_e32 v180, v52, v38
	ds_read2_b32 v[76:77], v104 offset0:40 offset1:236
	v_mul_f16_sdwa v52, v49, v40 dst_sel:DWORD dst_unused:UNUSED_PAD src0_sel:WORD_1 src1_sel:DWORD
	v_mul_f16_sdwa v38, v47, v169 dst_sel:DWORD dst_unused:UNUSED_PAD src0_sel:WORD_1 src1_sel:DWORD
	v_fmac_f16_e32 v168, v47, v169
	s_waitcnt lgkmcnt(2)
	v_lshrrev_b32_e32 v169, 16, v53
	v_lshrrev_b32_e32 v181, 16, v54
	v_fmac_f16_e32 v52, v49, v39
	v_mul_f16_sdwa v39, v49, v39 dst_sel:DWORD dst_unused:UNUSED_PAD src0_sel:WORD_1 src1_sel:DWORD
	v_mul_f16_sdwa v182, v48, v53 dst_sel:DWORD dst_unused:UNUSED_PAD src0_sel:WORD_1 src1_sel:DWORD
	;; [unrolled: 1-line block ×3, first 2 shown]
	v_fma_f16 v179, v47, v179, -v38
	v_mul_f16_sdwa v184, v42, v181 dst_sel:DWORD dst_unused:UNUSED_PAD src0_sel:WORD_1 src1_sel:DWORD
	v_fma_f16 v49, v49, v40, -v39
	ds_read2_b32 v[38:39], v128 offset0:16 offset1:212
	v_fma_f16 v169, v48, v169, -v182
	v_fmac_f16_e32 v183, v48, v53
	v_mul_f16_sdwa v40, v42, v54 dst_sel:DWORD dst_unused:UNUSED_PAD src0_sel:WORD_1 src1_sel:DWORD
	s_waitcnt lgkmcnt(2)
	v_lshrrev_b32_e32 v53, 16, v50
	ds_read2_b32 v[47:48], v112 offset0:24 offset1:220
	v_fmac_f16_e32 v184, v42, v54
	v_mul_f16_sdwa v54, v41, v50 dst_sel:DWORD dst_unused:UNUSED_PAD src0_sel:WORD_1 src1_sel:DWORD
	s_waitcnt lgkmcnt(2)
	v_lshrrev_b32_e32 v182, 16, v76
	v_mul_f16_sdwa v185, v43, v76 dst_sel:DWORD dst_unused:UNUSED_PAD src0_sel:WORD_1 src1_sel:DWORD
	v_fma_f16 v42, v42, v181, -v40
	v_mul_f16_sdwa v181, v41, v53 dst_sel:DWORD dst_unused:UNUSED_PAD src0_sel:WORD_1 src1_sel:DWORD
	v_fma_f16 v53, v41, v53, -v54
	v_sub_f16_e32 v170, v141, v170
	v_fma_f16 v54, v43, v182, -v185
	v_mul_f16_sdwa v182, v43, v182 dst_sel:DWORD dst_unused:UNUSED_PAD src0_sel:WORD_1 src1_sel:DWORD
	v_fmac_f16_e32 v181, v41, v50
	ds_read2_b32 v[40:41], v124 offset1:196
	v_lshrrev_b32_e32 v185, 16, v51
	v_lshrrev_b32_e32 v50, 16, v77
	v_fmac_f16_e32 v182, v43, v76
	v_lshrrev_b32_e32 v43, 16, v139
	s_waitcnt lgkmcnt(2)
	v_lshrrev_b32_e32 v187, 16, v39
	v_mul_f16_sdwa v186, v35, v185 dst_sel:DWORD dst_unused:UNUSED_PAD src0_sel:WORD_1 src1_sel:DWORD
	v_mul_f16_sdwa v76, v37, v50 dst_sel:DWORD dst_unused:UNUSED_PAD src0_sel:WORD_1 src1_sel:DWORD
	s_waitcnt lgkmcnt(1)
	v_lshrrev_b32_e32 v190, 16, v48
	v_mul_f16_sdwa v188, v33, v43 dst_sel:DWORD dst_unused:UNUSED_PAD src0_sel:WORD_1 src1_sel:DWORD
	v_mul_f16_sdwa v189, v34, v187 dst_sel:DWORD dst_unused:UNUSED_PAD src0_sel:WORD_1 src1_sel:DWORD
	;; [unrolled: 1-line block ×3, first 2 shown]
	v_fmac_f16_e32 v186, v35, v51
	v_mul_f16_sdwa v191, v32, v190 dst_sel:DWORD dst_unused:UNUSED_PAD src0_sel:WORD_1 src1_sel:DWORD
	v_fmac_f16_e32 v188, v33, v139
	v_mul_f16_sdwa v139, v33, v139 dst_sel:DWORD dst_unused:UNUSED_PAD src0_sel:WORD_1 src1_sel:DWORD
	;; [unrolled: 2-line block ×3, first 2 shown]
	v_fmac_f16_e32 v191, v32, v48
	v_fma_f16 v32, v32, v190, -v192
	v_fma_f16 v33, v33, v43, -v139
	s_waitcnt lgkmcnt(0)
	v_lshrrev_b32_e32 v43, 16, v40
	v_fma_f16 v34, v34, v187, -v39
	v_mul_f16_sdwa v51, v35, v51 dst_sel:DWORD dst_unused:UNUSED_PAD src0_sel:WORD_1 src1_sel:DWORD
	v_sub_f16_e32 v48, v191, v189
	v_sub_f16_e32 v139, v40, v188
	;; [unrolled: 1-line block ×4, first 2 shown]
	v_fmac_f16_e32 v76, v37, v77
	v_mul_f16_sdwa v77, v37, v77 dst_sel:DWORD dst_unused:UNUSED_PAD src0_sel:WORD_1 src1_sel:DWORD
	v_lshrrev_b32_e32 v39, 16, v38
	v_fma_f16 v43, v43, 2.0, -v33
	v_fma_f16 v32, v32, 2.0, -v34
	v_mul_f16_sdwa v187, v36, v38 dst_sel:DWORD dst_unused:UNUSED_PAD src0_sel:WORD_1 src1_sel:DWORD
	v_fma_f16 v188, v191, 2.0, -v48
	v_fma_f16 v40, v40, 2.0, -v139
	v_fma_f16 v51, v35, v185, -v51
	v_sub_f16_e32 v185, v43, v32
	v_sub_f16_e32 v48, v33, v48
	v_fma_f16 v37, v37, v50, -v77
	v_fma_f16 v50, v36, v39, -v187
	v_sub_f16_e32 v77, v40, v188
	v_add_f16_e32 v187, v139, v34
	v_fma_f16 v35, v43, 2.0, -v185
	v_fma_f16 v43, v33, 2.0, -v48
	ds_read2_b32 v[32:33], v114 offset0:8 offset1:204
	v_mul_f16_sdwa v39, v36, v39 dst_sel:DWORD dst_unused:UNUSED_PAD src0_sel:WORD_1 src1_sel:DWORD
	v_fma_f16 v34, v40, 2.0, -v77
	v_fma_f16 v40, v139, 2.0, -v187
	v_sub_f16_e32 v171, v151, v171
	v_fma_f16 v141, v141, 2.0, -v170
	v_fmac_f16_e32 v39, v36, v38
	v_lshrrev_b32_e32 v36, 16, v41
	v_pack_b32_f16 v40, v40, v43
	v_sub_f16_e32 v43, v41, v174
	v_pack_b32_f16 v38, v34, v35
	ds_read2_b32 v[34:35], v132 offset0:16 offset1:212
	v_sub_f16_e32 v139, v36, v172
	s_waitcnt lgkmcnt(0)
	v_fma_f16 v41, v41, 2.0, -v43
	v_fma_f16 v151, v151, 2.0, -v171
	s_barrier
	v_fma_f16 v36, v36, 2.0, -v139
	buffer_gl0_inv
	ds_write2_b32 v142, v38, v40 offset1:7
	v_sub_f16_e32 v38, v41, v141
	v_lshrrev_b32_e32 v141, 16, v32
	v_sub_f16_e32 v40, v36, v151
	v_add_f16_e32 v151, v43, v171
	v_sub_f16_e32 v140, v175, v140
	v_sub_f16_e32 v171, v32, v177
	;; [unrolled: 1-line block ×4, first 2 shown]
	v_pack_b32_f16 v77, v77, v185
	v_pack_b32_f16 v48, v187, v48
	v_sub_f16_e32 v170, v139, v170
	v_fma_f16 v141, v141, 2.0, -v144
	v_fma_f16 v172, v175, 2.0, -v140
	;; [unrolled: 1-line block ×8, first 2 shown]
	ds_write2_b32 v142, v77, v48 offset0:14 offset1:21
	v_sub_f16_e32 v48, v32, v172
	v_sub_f16_e32 v77, v141, v173
	v_pack_b32_f16 v36, v41, v36
	v_pack_b32_f16 v41, v43, v139
	;; [unrolled: 1-line block ×3, first 2 shown]
	v_fma_f16 v32, v32, 2.0, -v48
	v_fma_f16 v40, v141, 2.0, -v77
	v_add_f16_e32 v43, v171, v55
	v_sub_f16_e32 v55, v144, v140
	v_lshrrev_b32_e32 v140, 16, v33
	v_pack_b32_f16 v139, v151, v170
	v_pack_b32_f16 v32, v32, v40
	v_fma_f16 v40, v171, 2.0, -v43
	v_fma_f16 v141, v144, 2.0, -v55
	v_sub_f16_e32 v143, v140, v143
	v_sub_f16_e32 v151, v167, v166
	;; [unrolled: 1-line block ×4, first 2 shown]
	v_pack_b32_f16 v40, v40, v141
	v_fma_f16 v140, v140, 2.0, -v143
	v_fma_f16 v166, v167, 2.0, -v151
	ds_write2_b32 v145, v36, v41 offset1:7
	ds_write2_b32 v145, v38, v139 offset0:14 offset1:21
	ds_write2_b32 v147, v32, v40 offset1:7
	v_lshrrev_b32_e32 v40, 16, v34
	v_fma_f16 v33, v33, 2.0, -v142
	v_fma_f16 v141, v176, 2.0, -v144
	v_sub_f16_e32 v36, v140, v166
	v_pack_b32_f16 v38, v48, v77
	v_pack_b32_f16 v41, v43, v55
	v_sub_f16_e32 v55, v40, v169
	v_sub_f16_e32 v52, v168, v52
	;; [unrolled: 1-line block ×5, first 2 shown]
	v_fma_f16 v43, v140, 2.0, -v36
	v_fma_f16 v40, v40, 2.0, -v55
	;; [unrolled: 1-line block ×5, first 2 shown]
	ds_write2_b32 v147, v38, v41 offset0:14 offset1:21
	v_add_f16_e32 v48, v142, v151
	v_sub_f16_e32 v139, v143, v144
	v_sub_f16_e32 v38, v34, v140
	;; [unrolled: 1-line block ×3, first 2 shown]
	v_fma_f16 v33, v33, 2.0, -v32
	v_pack_b32_f16 v32, v32, v36
	v_fma_f16 v142, v142, 2.0, -v48
	v_fma_f16 v34, v34, 2.0, -v38
	;; [unrolled: 1-line block ×3, first 2 shown]
	v_add_f16_e32 v40, v77, v49
	v_sub_f16_e32 v49, v55, v52
	v_lshrrev_b32_e32 v52, 16, v35
	v_fma_f16 v143, v143, 2.0, -v139
	v_pack_b32_f16 v34, v34, v36
	v_fma_f16 v36, v77, 2.0, -v40
	v_fma_f16 v55, v55, 2.0, -v49
	v_pack_b32_f16 v48, v48, v139
	v_sub_f16_e32 v77, v35, v184
	v_sub_f16_e32 v42, v52, v42
	;; [unrolled: 1-line block ×4, first 2 shown]
	v_pack_b32_f16 v33, v33, v43
	v_pack_b32_f16 v43, v142, v143
	;; [unrolled: 1-line block ×3, first 2 shown]
	v_fma_f16 v35, v35, 2.0, -v77
	v_fma_f16 v52, v52, 2.0, -v42
	;; [unrolled: 1-line block ×4, first 2 shown]
	ds_write2_b32 v149, v33, v43 offset1:7
	ds_write2_b32 v149, v32, v48 offset0:14 offset1:21
	ds_write2_b32 v148, v34, v36 offset1:7
	v_lshrrev_b32_e32 v36, 16, v47
	v_pack_b32_f16 v34, v38, v41
	v_sub_f16_e32 v32, v35, v55
	v_sub_f16_e32 v33, v52, v53
	;; [unrolled: 1-line block ×6, first 2 shown]
	v_pack_b32_f16 v38, v40, v49
	v_fma_f16 v35, v35, 2.0, -v32
	v_fma_f16 v40, v52, 2.0, -v33
	;; [unrolled: 1-line block ×6, first 2 shown]
	v_add_f16_e32 v48, v77, v54
	v_pack_b32_f16 v35, v35, v40
	v_sub_f16_e32 v40, v42, v139
	v_sub_f16_e32 v49, v47, v49
	;; [unrolled: 1-line block ×3, first 2 shown]
	v_add_f16_e32 v37, v39, v37
	v_sub_f16_e32 v43, v41, v43
	v_fma_f16 v51, v77, 2.0, -v48
	v_fma_f16 v42, v42, 2.0, -v40
	;; [unrolled: 1-line block ×6, first 2 shown]
	v_pack_b32_f16 v42, v51, v42
	v_pack_b32_f16 v32, v32, v33
	;; [unrolled: 1-line block ×7, first 2 shown]
	ds_write2_b32 v148, v34, v38 offset0:14 offset1:21
	ds_write2_b32 v154, v35, v42 offset1:7
	ds_write2_b32 v154, v32, v33 offset0:14 offset1:21
	ds_write2_b32 v153, v36, v39 offset1:7
	ds_write2_b32 v153, v40, v37 offset0:14 offset1:21
	s_waitcnt lgkmcnt(0)
	s_barrier
	buffer_gl0_inv
	ds_read2_b32 v[32:33], v132 offset0:16 offset1:212
	ds_read2_b32 v[34:35], v131 offset0:32 offset1:228
	;; [unrolled: 1-line block ×3, first 2 shown]
	ds_read2_b32 v[41:42], v129 offset1:196
	ds_read2_b32 v[51:52], v109 offset0:56 offset1:252
	ds_read2_b32 v[53:54], v107 offset0:8 offset1:204
	;; [unrolled: 1-line block ×4, first 2 shown]
	s_waitcnt lgkmcnt(7)
	v_lshrrev_b32_e32 v36, 16, v32
	s_waitcnt lgkmcnt(6)
	v_lshrrev_b32_e32 v38, 16, v34
	v_mul_f16_sdwa v43, v1, v34 dst_sel:DWORD dst_unused:UNUSED_PAD src0_sel:WORD_1 src1_sel:DWORD
	v_mul_f16_sdwa v37, v0, v32 dst_sel:DWORD dst_unused:UNUSED_PAD src0_sel:WORD_1 src1_sel:DWORD
	s_waitcnt lgkmcnt(4)
	v_mul_f16_sdwa v47, v3, v41 dst_sel:DWORD dst_unused:UNUSED_PAD src0_sel:WORD_1 src1_sel:DWORD
	v_mul_f16_sdwa v142, v0, v36 dst_sel:DWORD dst_unused:UNUSED_PAD src0_sel:WORD_1 src1_sel:DWORD
	v_lshrrev_b32_e32 v55, 16, v33
	v_fma_f16 v143, v1, v38, -v43
	v_lshrrev_b32_e32 v43, 16, v41
	v_fma_f16 v141, v0, v36, -v37
	v_lshrrev_b32_e32 v36, 16, v39
	v_mul_f16_sdwa v37, v2, v39 dst_sel:DWORD dst_unused:UNUSED_PAD src0_sel:WORD_1 src1_sel:DWORD
	v_mul_f16_sdwa v144, v1, v38 dst_sel:DWORD dst_unused:UNUSED_PAD src0_sel:WORD_1 src1_sel:DWORD
	v_fma_f16 v148, v3, v43, -v47
	ds_read2_b32 v[47:48], v112 offset0:24 offset1:220
	v_mul_f16_sdwa v147, v2, v36 dst_sel:DWORD dst_unused:UNUSED_PAD src0_sel:WORD_1 src1_sel:DWORD
	v_mul_f16_sdwa v149, v3, v43 dst_sel:DWORD dst_unused:UNUSED_PAD src0_sel:WORD_1 src1_sel:DWORD
	v_fma_f16 v145, v2, v36, -v37
	v_fmac_f16_e32 v142, v0, v32
	v_mul_f16_sdwa v36, v20, v55 dst_sel:DWORD dst_unused:UNUSED_PAD src0_sel:WORD_1 src1_sel:DWORD
	v_fmac_f16_e32 v147, v2, v39
	v_fmac_f16_e32 v149, v3, v41
	v_lshrrev_b32_e32 v0, 16, v35
	v_lshrrev_b32_e32 v2, 16, v40
	;; [unrolled: 1-line block ×3, first 2 shown]
	v_fmac_f16_e32 v144, v1, v34
	v_fmac_f16_e32 v36, v20, v33
	v_mul_f16_sdwa v1, v20, v33 dst_sel:DWORD dst_unused:UNUSED_PAD src0_sel:WORD_1 src1_sel:DWORD
	v_mul_f16_sdwa v37, v21, v0 dst_sel:DWORD dst_unused:UNUSED_PAD src0_sel:WORD_1 src1_sel:DWORD
	;; [unrolled: 1-line block ×6, first 2 shown]
	v_fmac_f16_e32 v37, v21, v35
	v_mul_f16_sdwa v32, v21, v35 dst_sel:DWORD dst_unused:UNUSED_PAD src0_sel:WORD_1 src1_sel:DWORD
	v_fmac_f16_e32 v38, v22, v40
	v_fmac_f16_e32 v39, v23, v42
	s_waitcnt lgkmcnt(0)
	v_lshrrev_b32_e32 v35, 16, v47
	v_mul_f16_sdwa v76, v4, v47 dst_sel:DWORD dst_unused:UNUSED_PAD src0_sel:WORD_1 src1_sel:DWORD
	v_fma_f16 v40, v22, v2, -v33
	v_fma_f16 v42, v23, v3, -v34
	v_lshrrev_b32_e32 v2, 16, v51
	v_lshrrev_b32_e32 v34, 16, v53
	v_mul_f16_sdwa v33, v7, v53 dst_sel:DWORD dst_unused:UNUSED_PAD src0_sel:WORD_1 src1_sel:DWORD
	v_fma_f16 v43, v20, v55, -v1
	v_fma_f16 v41, v21, v0, -v32
	;; [unrolled: 1-line block ×3, first 2 shown]
	v_mul_f16_sdwa v21, v4, v35 dst_sel:DWORD dst_unused:UNUSED_PAD src0_sel:WORD_1 src1_sel:DWORD
	v_mul_f16_sdwa v3, v6, v51 dst_sel:DWORD dst_unused:UNUSED_PAD src0_sel:WORD_1 src1_sel:DWORD
	;; [unrolled: 1-line block ×3, first 2 shown]
	v_fma_f16 v33, v7, v34, -v33
	v_mul_f16_sdwa v34, v7, v34 dst_sel:DWORD dst_unused:UNUSED_PAD src0_sel:WORD_1 src1_sel:DWORD
	ds_read2_b32 v[76:77], v128 offset0:16 offset1:212
	v_lshrrev_b32_e32 v0, 16, v49
	v_mul_f16_sdwa v1, v5, v49 dst_sel:DWORD dst_unused:UNUSED_PAD src0_sel:WORD_1 src1_sel:DWORD
	v_fma_f16 v23, v6, v2, -v3
	v_fmac_f16_e32 v21, v4, v47
	v_lshrrev_b32_e32 v4, 16, v48
	v_lshrrev_b32_e32 v47, 16, v50
	v_fmac_f16_e32 v32, v6, v51
	v_fmac_f16_e32 v34, v7, v53
	v_lshrrev_b32_e32 v6, 16, v52
	v_lshrrev_b32_e32 v7, 16, v54
	v_fma_f16 v22, v5, v0, -v1
	v_mul_f16_sdwa v35, v5, v0 dst_sel:DWORD dst_unused:UNUSED_PAD src0_sel:WORD_1 src1_sel:DWORD
	v_mul_f16_sdwa v0, v12, v4 dst_sel:DWORD dst_unused:UNUSED_PAD src0_sel:WORD_1 src1_sel:DWORD
	;; [unrolled: 1-line block ×5, first 2 shown]
	v_fmac_f16_e32 v35, v5, v49
	v_fmac_f16_e32 v0, v12, v48
	v_mul_f16_sdwa v5, v12, v48 dst_sel:DWORD dst_unused:UNUSED_PAD src0_sel:WORD_1 src1_sel:DWORD
	v_fmac_f16_e32 v1, v13, v50
	v_mul_f16_sdwa v48, v13, v50 dst_sel:DWORD dst_unused:UNUSED_PAD src0_sel:WORD_1 src1_sel:DWORD
	;; [unrolled: 2-line block ×4, first 2 shown]
	ds_read2_b32 v[52:53], v105 offset0:24 offset1:220
	ds_read2_b32 v[54:55], v104 offset0:40 offset1:236
	v_fma_f16 v5, v12, v4, -v5
	v_fma_f16 v4, v13, v47, -v48
	s_waitcnt lgkmcnt(2)
	v_lshrrev_b32_e32 v12, 16, v76
	v_mul_f16_sdwa v13, v72, v76 dst_sel:DWORD dst_unused:UNUSED_PAD src0_sel:WORD_1 src1_sel:DWORD
	v_fma_f16 v7, v15, v7, -v50
	v_mul_f16_sdwa v15, v73, v139 dst_sel:DWORD dst_unused:UNUSED_PAD src0_sel:WORD_1 src1_sel:DWORD
	v_fma_f16 v6, v14, v6, -v49
	;; [unrolled: 2-line block ×3, first 2 shown]
	v_lshrrev_b32_e32 v13, 16, v139
	v_lshrrev_b32_e32 v14, 16, v77
	;; [unrolled: 1-line block ×3, first 2 shown]
	v_fmac_f16_e32 v153, v72, v76
	v_mul_f16_sdwa v12, v80, v77 dst_sel:DWORD dst_unused:UNUSED_PAD src0_sel:WORD_1 src1_sel:DWORD
	v_mul_f16_sdwa v154, v73, v13 dst_sel:DWORD dst_unused:UNUSED_PAD src0_sel:WORD_1 src1_sel:DWORD
	v_fma_f16 v166, v73, v13, -v15
	v_mul_f16_sdwa v13, v81, v140 dst_sel:DWORD dst_unused:UNUSED_PAD src0_sel:WORD_1 src1_sel:DWORD
	v_mul_f16_sdwa v48, v80, v14 dst_sel:DWORD dst_unused:UNUSED_PAD src0_sel:WORD_1 src1_sel:DWORD
	s_waitcnt lgkmcnt(1)
	v_lshrrev_b32_e32 v15, 16, v52
	v_fmac_f16_e32 v154, v73, v139
	v_mul_f16_sdwa v72, v78, v52 dst_sel:DWORD dst_unused:UNUSED_PAD src0_sel:WORD_1 src1_sel:DWORD
	s_waitcnt lgkmcnt(0)
	v_lshrrev_b32_e32 v76, 16, v54
	v_mul_f16_sdwa v73, v79, v54 dst_sel:DWORD dst_unused:UNUSED_PAD src0_sel:WORD_1 src1_sel:DWORD
	v_mul_f16_sdwa v49, v81, v47 dst_sel:DWORD dst_unused:UNUSED_PAD src0_sel:WORD_1 src1_sel:DWORD
	v_fma_f16 v50, v80, v14, -v12
	v_fma_f16 v51, v81, v47, -v13
	;; [unrolled: 1-line block ×3, first 2 shown]
	v_mul_f16_sdwa v14, v78, v15 dst_sel:DWORD dst_unused:UNUSED_PAD src0_sel:WORD_1 src1_sel:DWORD
	v_fma_f16 v15, v79, v76, -v73
	ds_read2_b32 v[72:73], v124 offset1:196
	v_fmac_f16_e32 v48, v80, v77
	v_fmac_f16_e32 v49, v81, v140
	v_add_f16_e32 v77, v142, v154
	v_add_f16_e32 v81, v144, v153
	;; [unrolled: 1-line block ×3, first 2 shown]
	v_fmac_f16_e32 v14, v78, v52
	v_mul_f16_sdwa v47, v79, v76 dst_sel:DWORD dst_unused:UNUSED_PAD src0_sel:WORD_1 src1_sel:DWORD
	v_add_f16_e32 v80, v141, v166
	v_add_f16_e32 v168, v81, v77
	;; [unrolled: 1-line block ×3, first 2 shown]
	v_sub_f16_e32 v78, v142, v154
	v_add_f16_e32 v167, v145, v148
	v_fmac_f16_e32 v47, v79, v54
	v_add_f16_e32 v52, v140, v168
	v_add_f16_e32 v169, v139, v80
	v_sub_f16_e32 v79, v141, v166
	v_sub_f16_e32 v141, v144, v153
	;; [unrolled: 1-line block ×4, first 2 shown]
	s_waitcnt lgkmcnt(0)
	v_add_f16_e32 v142, v72, v52
	v_add_f16_e32 v54, v167, v169
	v_sub_f16_e32 v145, v148, v145
	v_sub_f16_e32 v148, v80, v167
	;; [unrolled: 1-line block ×3, first 2 shown]
	v_fmamk_f16 v147, v52, 0xbcab, v142
	v_sub_f16_e32 v52, v77, v140
	v_sub_f16_e32 v140, v140, v81
	v_lshrrev_b32_e32 v76, 16, v53
	v_add_f16_e32 v151, v144, v141
	v_sub_f16_e32 v153, v144, v141
	v_mul_f16_e32 v167, 0x3a52, v52
	v_add_f16_e32 v154, v145, v143
	v_sub_f16_e32 v166, v145, v143
	v_lshrrev_b32_e32 v171, 16, v55
	v_mul_f16_sdwa v12, v74, v76 dst_sel:DWORD dst_unused:UNUSED_PAD src0_sel:WORD_1 src1_sel:DWORD
	v_fmamk_f16 v52, v140, 0x2b26, v167
	v_add_f16_sdwa v72, v72, v54 dst_sel:DWORD dst_unused:UNUSED_PAD src0_sel:WORD_1 src1_sel:DWORD
	v_sub_f16_e32 v144, v78, v144
	v_sub_f16_e32 v145, v79, v145
	v_add_f16_e32 v151, v151, v78
	v_mul_f16_e32 v148, 0x3a52, v148
	v_mul_f16_e32 v166, 0x3846, v166
	;; [unrolled: 1-line block ×3, first 2 shown]
	v_add_f16_e32 v154, v154, v79
	v_add_f16_e32 v172, v52, v147
	v_mul_f16_sdwa v173, v75, v171 dst_sel:DWORD dst_unused:UNUSED_PAD src0_sel:WORD_1 src1_sel:DWORD
	v_mul_f16_sdwa v52, v74, v53 dst_sel:DWORD dst_unused:UNUSED_PAD src0_sel:WORD_1 src1_sel:DWORD
	v_sub_f16_e32 v78, v141, v78
	v_sub_f16_e32 v79, v143, v79
	v_fmac_f16_e32 v12, v74, v53
	v_fmamk_f16 v54, v54, 0xbcab, v72
	v_fmamk_f16 v168, v149, 0x2b26, v148
	;; [unrolled: 1-line block ×4, first 2 shown]
	v_mul_f16_sdwa v53, v75, v55 dst_sel:DWORD dst_unused:UNUSED_PAD src0_sel:WORD_1 src1_sel:DWORD
	v_fmac_f16_e32 v173, v75, v55
	v_fma_f16 v55, v74, v76, -v52
	v_sub_f16_e32 v76, v81, v77
	v_mul_f16_e32 v77, 0x2b26, v140
	v_sub_f16_e32 v80, v139, v80
	v_mul_f16_e32 v81, 0x2b26, v149
	v_mul_f16_e32 v139, 0x3b00, v78
	;; [unrolled: 1-line block ×3, first 2 shown]
	v_add_f16_e32 v168, v168, v54
	v_fmac_f16_e32 v169, 0xb70e, v154
	v_fmac_f16_e32 v170, 0xb70e, v151
	v_fma_f16 v77, v76, 0x39e0, -v77
	v_fma_f16 v76, v76, 0xb9e0, -v167
	;; [unrolled: 1-line block ×5, first 2 shown]
	v_fmac_f16_e32 v139, 0x3574, v144
	v_fma_f16 v79, v79, 0xbb00, -v166
	v_fmac_f16_e32 v140, 0x3574, v145
	v_add_f16_e32 v174, v169, v172
	v_sub_f16_e32 v175, v168, v170
	v_add_f16_e32 v77, v77, v147
	v_add_f16_e32 v76, v76, v147
	;; [unrolled: 1-line block ×4, first 2 shown]
	v_fmac_f16_e32 v140, 0xb70e, v154
	v_fmac_f16_e32 v139, 0xb70e, v151
	;; [unrolled: 1-line block ×4, first 2 shown]
	v_fma_f16 v74, v75, v171, -v53
	v_pack_b32_f16 v72, v142, v72
	v_pack_b32_f16 v75, v174, v175
	v_add_f16_e32 v80, v140, v76
	v_sub_f16_e32 v141, v54, v139
	v_sub_f16_e32 v142, v77, v79
	v_add_f16_e32 v143, v78, v81
	ds_read2_b32 v[52:53], v114 offset0:8 offset1:204
	s_waitcnt lgkmcnt(0)
	s_barrier
	buffer_gl0_inv
	ds_write2_b32 v146, v72, v75 offset1:28
	v_pack_b32_f16 v72, v80, v141
	v_pack_b32_f16 v75, v142, v143
	v_add_f16_e32 v80, v36, v49
	v_add_f16_e32 v141, v37, v48
	;; [unrolled: 1-line block ×9, first 2 shown]
	v_sub_f16_e32 v78, v81, v78
	v_add_f16_e32 v54, v139, v54
	v_add_f16_e32 v81, v79, v144
	v_sub_f16_e32 v36, v36, v49
	v_add_f16_e32 v139, v145, v147
	v_sub_f16_e32 v37, v37, v48
	v_sub_f16_e32 v41, v41, v50
	v_add_f16_e32 v48, v73, v81
	v_sub_f16_e32 v50, v80, v79
	v_add_f16_sdwa v49, v73, v139 dst_sel:DWORD dst_unused:UNUSED_PAD src0_sel:WORD_1 src1_sel:DWORD
	v_sub_f16_e32 v73, v142, v145
	v_sub_f16_e32 v43, v43, v51
	v_sub_f16_e32 v38, v39, v38
	v_sub_f16_e32 v51, v79, v141
	v_sub_f16_e32 v79, v145, v143
	v_mul_f16_e32 v50, 0x3a52, v50
	v_mul_f16_e32 v73, 0x3a52, v73
	v_sub_f16_e32 v39, v42, v40
	v_sub_f16_e32 v76, v76, v140
	v_fmamk_f16 v40, v81, 0xbcab, v48
	v_fmamk_f16 v42, v139, 0xbcab, v49
	v_add_f16_e32 v81, v38, v37
	v_fmamk_f16 v145, v51, 0x2b26, v50
	v_fmamk_f16 v147, v79, 0x2b26, v73
	v_sub_f16_e32 v139, v38, v37
	v_sub_f16_e32 v144, v39, v41
	;; [unrolled: 1-line block ×3, first 2 shown]
	v_add_f16_e32 v140, v39, v41
	v_add_f16_e32 v81, v81, v36
	v_pack_b32_f16 v77, v77, v78
	v_add_f16_e32 v78, v145, v40
	v_add_f16_e32 v145, v147, v42
	v_pack_b32_f16 v54, v76, v54
	v_sub_f16_e32 v76, v172, v169
	v_add_f16_e32 v147, v170, v168
	v_sub_f16_e32 v41, v41, v43
	v_sub_f16_e32 v36, v37, v36
	;; [unrolled: 1-line block ×3, first 2 shown]
	v_mul_f16_e32 v144, 0x3846, v144
	v_mul_f16_e32 v139, 0x3846, v139
	v_add_f16_e32 v140, v140, v43
	ds_write2_b32 v146, v72, v75 offset0:56 offset1:84
	ds_write2_b32 v146, v77, v54 offset0:112 offset1:140
	v_pack_b32_f16 v54, v76, v147
	v_sub_f16_e32 v72, v141, v80
	v_sub_f16_e32 v37, v143, v142
	v_mul_f16_e32 v43, 0x2b26, v79
	v_mul_f16_e32 v75, 0x3b00, v41
	;; [unrolled: 1-line block ×3, first 2 shown]
	v_fmamk_f16 v148, v39, 0xb574, v144
	v_fmamk_f16 v149, v38, 0xb574, v139
	v_mul_f16_e32 v51, 0x2b26, v51
	v_fma_f16 v50, v72, 0xb9e0, -v50
	v_fma_f16 v43, v37, 0x39e0, -v43
	;; [unrolled: 1-line block ×3, first 2 shown]
	v_fmac_f16_e32 v75, 0x3574, v39
	v_fmac_f16_e32 v76, 0x3574, v38
	;; [unrolled: 1-line block ×4, first 2 shown]
	v_fma_f16 v51, v72, 0x39e0, -v51
	v_add_f16_e32 v38, v50, v40
	v_add_f16_e32 v37, v37, v42
	v_fmac_f16_e32 v75, 0xb70e, v140
	v_fmac_f16_e32 v76, 0xb70e, v81
	v_fma_f16 v39, v41, 0xbb00, -v144
	v_add_f16_e32 v151, v148, v78
	v_sub_f16_e32 v153, v145, v149
	v_fma_f16 v36, v36, 0xbb00, -v139
	v_add_f16_e32 v40, v51, v40
	v_add_f16_e32 v41, v43, v42
	;; [unrolled: 1-line block ×3, first 2 shown]
	v_sub_f16_e32 v43, v37, v76
	v_fmac_f16_e32 v39, 0xb70e, v140
	v_pack_b32_f16 v48, v48, v49
	v_pack_b32_f16 v49, v151, v153
	v_fmac_f16_e32 v36, 0xb70e, v81
	ds_write_b32 v146, v54 offset:672
	ds_write2_b32 v150, v48, v49 offset1:28
	v_pack_b32_f16 v42, v42, v43
	v_sub_f16_e32 v43, v40, v39
	v_add_f16_e32 v39, v39, v40
	v_add_f16_e32 v40, v21, v47
	;; [unrolled: 1-line block ×4, first 2 shown]
	v_sub_f16_e32 v36, v41, v36
	v_add_f16_e32 v41, v20, v15
	v_add_f16_e32 v50, v22, v13
	v_sub_f16_e32 v38, v38, v75
	v_add_f16_e32 v37, v76, v37
	v_add_f16_e32 v51, v32, v34
	;; [unrolled: 1-line block ×5, first 2 shown]
	v_pack_b32_f16 v37, v38, v37
	v_pack_b32_f16 v36, v39, v36
	v_add_f16_e32 v38, v51, v72
	v_sub_f16_e32 v15, v20, v15
	v_add_f16_e32 v39, v54, v73
	v_sub_f16_e32 v13, v22, v13
	v_sub_f16_e32 v22, v34, v32
	v_add_f16_e32 v20, v52, v38
	v_sub_f16_e32 v34, v40, v51
	v_sub_f16_e32 v14, v35, v14
	v_add_f16_sdwa v35, v52, v39 dst_sel:DWORD dst_unused:UNUSED_PAD src0_sel:WORD_1 src1_sel:DWORD
	v_sub_f16_e32 v23, v33, v23
	v_sub_f16_e32 v21, v21, v47
	v_fmamk_f16 v32, v38, 0xbcab, v20
	v_sub_f16_e32 v38, v51, v49
	v_mul_f16_e32 v34, 0x3a52, v34
	v_fmamk_f16 v33, v39, 0xbcab, v35
	v_sub_f16_e32 v39, v41, v54
	v_sub_f16_e32 v51, v22, v14
	;; [unrolled: 1-line block ×3, first 2 shown]
	v_pack_b32_f16 v43, v43, v48
	v_sub_f16_e32 v47, v54, v50
	v_add_f16_e32 v48, v22, v14
	v_add_f16_e32 v54, v23, v13
	v_fmamk_f16 v72, v38, 0x2b26, v34
	v_sub_f16_e32 v40, v49, v40
	v_mul_f16_e32 v38, 0x2b26, v38
	v_sub_f16_e32 v14, v14, v21
	v_sub_f16_e32 v13, v13, v15
	v_sub_f16_e32 v22, v21, v22
	v_sub_f16_e32 v23, v15, v23
	v_mul_f16_e32 v52, 0x3846, v52
	v_mul_f16_e32 v39, 0x3a52, v39
	;; [unrolled: 1-line block ×3, first 2 shown]
	v_add_f16_e32 v54, v54, v15
	v_add_f16_e32 v48, v48, v21
	v_sub_f16_e32 v41, v50, v41
	v_mul_f16_e32 v21, 0x2b26, v47
	v_fma_f16 v15, v40, 0x39e0, -v38
	v_fma_f16 v34, v40, 0xb9e0, -v34
	v_mul_f16_e32 v38, 0x3b00, v14
	v_mul_f16_e32 v40, 0x3b00, v13
	v_fmamk_f16 v73, v23, 0xb574, v52
	v_fmamk_f16 v75, v47, 0x2b26, v39
	;; [unrolled: 1-line block ×3, first 2 shown]
	v_fma_f16 v21, v41, 0x39e0, -v21
	v_fma_f16 v39, v41, 0xb9e0, -v39
	;; [unrolled: 1-line block ×3, first 2 shown]
	v_fmac_f16_e32 v38, 0x3574, v22
	v_fma_f16 v13, v13, 0xbb00, -v52
	v_fmac_f16_e32 v40, 0x3574, v23
	v_add_f16_e32 v72, v72, v32
	v_fmac_f16_e32 v73, 0xb70e, v54
	v_add_f16_e32 v75, v75, v33
	;; [unrolled: 2-line block ×3, first 2 shown]
	v_add_f16_e32 v22, v34, v32
	v_add_f16_e32 v21, v21, v33
	;; [unrolled: 1-line block ×3, first 2 shown]
	v_fmac_f16_e32 v40, 0xb70e, v54
	v_fmac_f16_e32 v38, 0xb70e, v48
	v_fmac_f16_e32 v13, 0xb70e, v54
	v_fmac_f16_e32 v14, 0xb70e, v48
	v_sub_f16_e32 v77, v78, v148
	v_add_f16_e32 v78, v149, v145
	v_add_f16_e32 v79, v73, v72
	v_sub_f16_e32 v32, v75, v76
	v_add_f16_e32 v33, v40, v22
	v_sub_f16_e32 v34, v23, v38
	v_sub_f16_e32 v39, v15, v13
	v_add_f16_e32 v41, v14, v21
	v_pack_b32_f16 v47, v77, v78
	v_pack_b32_f16 v20, v20, v35
	;; [unrolled: 1-line block ×5, first 2 shown]
	ds_write2_b32 v150, v42, v43 offset0:56 offset1:84
	ds_write2_b32 v150, v36, v37 offset0:112 offset1:140
	ds_write_b32 v150, v47 offset:672
	ds_write2_b32 v152, v20, v32 offset1:28
	ds_write2_b32 v152, v33, v34 offset0:56 offset1:84
	v_add_f16_e32 v13, v13, v15
	v_sub_f16_e32 v14, v21, v14
	v_sub_f16_e32 v15, v22, v40
	v_add_f16_e32 v20, v0, v173
	v_add_f16_e32 v21, v1, v12
	;; [unrolled: 1-line block ×9, first 2 shown]
	v_pack_b32_f16 v13, v13, v14
	v_pack_b32_f16 v14, v15, v23
	v_add_f16_e32 v23, v33, v34
	v_sub_f16_e32 v1, v1, v12
	v_add_f16_e32 v34, v35, v36
	v_sub_f16_e32 v4, v4, v55
	v_sub_f16_e32 v2, v3, v2
	v_add_f16_e32 v12, v53, v23
	v_sub_f16_e32 v3, v7, v6
	v_add_f16_sdwa v36, v53, v34 dst_sel:DWORD dst_unused:UNUSED_PAD src0_sel:WORD_1 src1_sel:DWORD
	v_sub_f16_e32 v0, v0, v173
	v_sub_f16_e32 v5, v5, v74
	v_fmamk_f16 v6, v23, 0xbcab, v12
	v_sub_f16_e32 v23, v20, v33
	v_fmamk_f16 v7, v34, 0xbcab, v36
	v_sub_f16_e32 v33, v33, v21
	v_sub_f16_e32 v34, v22, v35
	v_add_f16_e32 v37, v2, v1
	v_sub_f16_e32 v38, v2, v1
	v_sub_f16_e32 v40, v3, v4
	;; [unrolled: 1-line block ×4, first 2 shown]
	v_add_f16_e32 v39, v3, v4
	v_sub_f16_e32 v3, v5, v3
	v_add_f16_e32 v37, v37, v0
	v_mul_f16_e32 v23, 0x3a52, v23
	v_mul_f16_e32 v34, 0x3a52, v34
	;; [unrolled: 1-line block ×4, first 2 shown]
	v_sub_f16_e32 v20, v21, v20
	v_mul_f16_e32 v21, 0x2b26, v33
	v_sub_f16_e32 v0, v1, v0
	v_sub_f16_e32 v4, v4, v5
	v_add_f16_e32 v39, v39, v5
	v_fmamk_f16 v41, v33, 0x2b26, v23
	v_fmamk_f16 v42, v35, 0x2b26, v34
	;; [unrolled: 1-line block ×4, first 2 shown]
	v_sub_f16_e32 v22, v32, v22
	v_mul_f16_e32 v1, 0x2b26, v35
	v_fma_f16 v5, v20, 0x39e0, -v21
	v_fma_f16 v20, v20, 0xb9e0, -v23
	v_mul_f16_e32 v21, 0x3b00, v0
	v_mul_f16_e32 v23, 0x3b00, v4
	v_sub_f16_e32 v15, v72, v73
	v_add_f16_e32 v48, v76, v75
	v_add_f16_e32 v41, v41, v6
	;; [unrolled: 1-line block ×3, first 2 shown]
	v_fmac_f16_e32 v43, 0xb70e, v39
	v_fmac_f16_e32 v47, 0xb70e, v37
	v_fma_f16 v1, v22, 0x39e0, -v1
	v_fma_f16 v22, v22, 0xb9e0, -v34
	;; [unrolled: 1-line block ×3, first 2 shown]
	v_fmac_f16_e32 v21, 0x3574, v2
	v_fma_f16 v2, v4, 0xbb00, -v40
	v_fmac_f16_e32 v23, 0x3574, v3
	ds_write2_b32 v152, v13, v14 offset0:112 offset1:140
	v_pack_b32_f16 v13, v15, v48
	v_add_f16_e32 v14, v43, v41
	v_sub_f16_e32 v15, v42, v47
	v_add_f16_e32 v3, v5, v6
	v_add_f16_e32 v4, v20, v6
	;; [unrolled: 1-line block ×4, first 2 shown]
	v_fmac_f16_e32 v23, 0xb70e, v39
	v_fmac_f16_e32 v21, 0xb70e, v37
	;; [unrolled: 1-line block ×4, first 2 shown]
	v_pack_b32_f16 v6, v14, v15
	v_add_f16_e32 v7, v23, v4
	v_sub_f16_e32 v14, v5, v21
	v_sub_f16_e32 v15, v3, v2
	v_add_f16_e32 v20, v0, v1
	v_add_f16_e32 v2, v2, v3
	v_sub_f16_e32 v0, v1, v0
	v_sub_f16_e32 v1, v4, v23
	v_add_f16_e32 v3, v21, v5
	v_sub_f16_e32 v4, v41, v43
	v_add_f16_e32 v5, v47, v42
	v_pack_b32_f16 v12, v12, v36
	v_pack_b32_f16 v7, v7, v14
	;; [unrolled: 1-line block ×6, first 2 shown]
	ds_write_b32 v152, v13 offset:672
	ds_write2_b32 v155, v12, v6 offset1:28
	ds_write2_b32 v155, v7, v14 offset0:56 offset1:84
	ds_write2_b32 v155, v0, v1 offset0:112 offset1:140
	ds_write_b32 v155, v2 offset:672
	s_waitcnt lgkmcnt(0)
	s_barrier
	buffer_gl0_inv
	ds_read2_b32 v[0:1], v131 offset0:32 offset1:228
	ds_read2_b32 v[2:3], v129 offset1:196
	ds_read2_b32 v[4:5], v105 offset0:24 offset1:220
	ds_read2_b32 v[6:7], v110 offset0:40 offset1:236
	;; [unrolled: 1-line block ×3, first 2 shown]
	s_waitcnt lgkmcnt(4)
	v_lshrrev_b32_e32 v14, 16, v1
	s_waitcnt lgkmcnt(3)
	v_lshrrev_b32_e32 v20, 16, v2
	v_mul_f16_sdwa v15, v56, v1 dst_sel:DWORD dst_unused:UNUSED_PAD src0_sel:WORD_1 src1_sel:DWORD
	v_mul_f16_sdwa v21, v57, v2 dst_sel:DWORD dst_unused:UNUSED_PAD src0_sel:WORD_1 src1_sel:DWORD
	s_waitcnt lgkmcnt(2)
	v_lshrrev_b32_e32 v23, 16, v5
	v_mul_f16_sdwa v22, v56, v14 dst_sel:DWORD dst_unused:UNUSED_PAD src0_sel:WORD_1 src1_sel:DWORD
	v_mul_f16_sdwa v34, v57, v20 dst_sel:DWORD dst_unused:UNUSED_PAD src0_sel:WORD_1 src1_sel:DWORD
	v_fma_f16 v32, v56, v14, -v15
	v_lshrrev_b32_e32 v15, 16, v3
	v_mul_f16_sdwa v14, v58, v5 dst_sel:DWORD dst_unused:UNUSED_PAD src0_sel:WORD_1 src1_sel:DWORD
	v_fmac_f16_e32 v22, v56, v1
	v_fmac_f16_e32 v34, v57, v2
	ds_read2_b32 v[1:2], v107 offset0:8 offset1:204
	v_mul_f16_sdwa v35, v58, v23 dst_sel:DWORD dst_unused:UNUSED_PAD src0_sel:WORD_1 src1_sel:DWORD
	v_mul_f16_sdwa v36, v69, v15 dst_sel:DWORD dst_unused:UNUSED_PAD src0_sel:WORD_1 src1_sel:DWORD
	v_fma_f16 v33, v57, v20, -v21
	v_fma_f16 v23, v58, v23, -v14
	s_waitcnt lgkmcnt(2)
	v_lshrrev_b32_e32 v14, 16, v6
	v_fmac_f16_e32 v35, v58, v5
	v_mul_f16_sdwa v5, v69, v3 dst_sel:DWORD dst_unused:UNUSED_PAD src0_sel:WORD_1 src1_sel:DWORD
	v_mul_f16_sdwa v20, v68, v6 dst_sel:DWORD dst_unused:UNUSED_PAD src0_sel:WORD_1 src1_sel:DWORD
	v_fmac_f16_e32 v36, v69, v3
	s_waitcnt lgkmcnt(1)
	v_lshrrev_b32_e32 v3, 16, v12
	v_mul_f16_sdwa v21, v70, v12 dst_sel:DWORD dst_unused:UNUSED_PAD src0_sel:WORD_1 src1_sel:DWORD
	v_fma_f16 v37, v69, v15, -v5
	v_fma_f16 v38, v68, v14, -v20
	v_mul_f16_sdwa v39, v68, v14 dst_sel:DWORD dst_unused:UNUSED_PAD src0_sel:WORD_1 src1_sel:DWORD
	v_lshrrev_b32_e32 v5, 16, v7
	v_fma_f16 v40, v70, v3, -v21
	v_mul_f16_sdwa v41, v70, v3 dst_sel:DWORD dst_unused:UNUSED_PAD src0_sel:WORD_1 src1_sel:DWORD
	v_lshrrev_b32_e32 v3, 16, v13
	ds_read2_b32 v[14:15], v130 offset0:48 offset1:244
	ds_read2_b32 v[20:21], v104 offset0:40 offset1:236
	v_mul_f16_sdwa v42, v65, v5 dst_sel:DWORD dst_unused:UNUSED_PAD src0_sel:WORD_1 src1_sel:DWORD
	v_fmac_f16_e32 v39, v68, v6
	v_mul_f16_sdwa v43, v67, v3 dst_sel:DWORD dst_unused:UNUSED_PAD src0_sel:WORD_1 src1_sel:DWORD
	s_waitcnt lgkmcnt(2)
	v_lshrrev_b32_e32 v6, 16, v1
	v_fmac_f16_e32 v41, v70, v12
	v_fmac_f16_e32 v42, v65, v7
	v_mul_f16_sdwa v7, v65, v7 dst_sel:DWORD dst_unused:UNUSED_PAD src0_sel:WORD_1 src1_sel:DWORD
	v_fmac_f16_e32 v43, v67, v13
	v_mul_f16_sdwa v12, v67, v13 dst_sel:DWORD dst_unused:UNUSED_PAD src0_sel:WORD_1 src1_sel:DWORD
	v_mul_f16_sdwa v13, v66, v1 dst_sel:DWORD dst_unused:UNUSED_PAD src0_sel:WORD_1 src1_sel:DWORD
	v_mul_f16_sdwa v47, v66, v6 dst_sel:DWORD dst_unused:UNUSED_PAD src0_sel:WORD_1 src1_sel:DWORD
	v_lshrrev_b32_e32 v48, 16, v2
	v_fma_f16 v7, v65, v5, -v7
	v_fma_f16 v49, v67, v3, -v12
	;; [unrolled: 1-line block ×3, first 2 shown]
	v_fmac_f16_e32 v47, v66, v1
	v_mul_f16_sdwa v51, v63, v48 dst_sel:DWORD dst_unused:UNUSED_PAD src0_sel:WORD_1 src1_sel:DWORD
	v_mul_f16_sdwa v1, v63, v2 dst_sel:DWORD dst_unused:UNUSED_PAD src0_sel:WORD_1 src1_sel:DWORD
	ds_read2_b32 v[5:6], v128 offset0:16 offset1:212
	s_waitcnt lgkmcnt(2)
	v_lshrrev_b32_e32 v3, 16, v14
	v_mul_f16_sdwa v12, v62, v14 dst_sel:DWORD dst_unused:UNUSED_PAD src0_sel:WORD_1 src1_sel:DWORD
	s_waitcnt lgkmcnt(1)
	v_lshrrev_b32_e32 v13, 16, v20
	v_mul_f16_sdwa v52, v64, v20 dst_sel:DWORD dst_unused:UNUSED_PAD src0_sel:WORD_1 src1_sel:DWORD
	v_fmac_f16_e32 v51, v63, v2
	v_fma_f16 v48, v63, v48, -v1
	ds_read2_b32 v[1:2], v109 offset0:56 offset1:252
	v_fma_f16 v53, v62, v3, -v12
	v_mul_f16_sdwa v54, v62, v3 dst_sel:DWORD dst_unused:UNUSED_PAD src0_sel:WORD_1 src1_sel:DWORD
	v_fma_f16 v52, v64, v13, -v52
	v_lshrrev_b32_e32 v3, 16, v15
	v_lshrrev_b32_e32 v55, 16, v21
	v_mul_f16_sdwa v56, v64, v13 dst_sel:DWORD dst_unused:UNUSED_PAD src0_sel:WORD_1 src1_sel:DWORD
	ds_read2_b32 v[12:13], v112 offset0:24 offset1:220
	v_fmac_f16_e32 v54, v62, v14
	v_mul_f16_sdwa v57, v59, v3 dst_sel:DWORD dst_unused:UNUSED_PAD src0_sel:WORD_1 src1_sel:DWORD
	v_mul_f16_sdwa v14, v59, v15 dst_sel:DWORD dst_unused:UNUSED_PAD src0_sel:WORD_1 src1_sel:DWORD
	;; [unrolled: 1-line block ×3, first 2 shown]
	v_fmac_f16_e32 v56, v64, v20
	v_mul_f16_sdwa v20, v61, v21 dst_sel:DWORD dst_unused:UNUSED_PAD src0_sel:WORD_1 src1_sel:DWORD
	v_fmac_f16_e32 v57, v59, v15
	v_lshrrev_b32_e32 v62, 16, v0
	v_fmac_f16_e32 v58, v61, v21
	v_fma_f16 v21, v59, v3, -v14
	s_waitcnt lgkmcnt(2)
	v_lshrrev_b32_e32 v3, 16, v5
	ds_read2_b32 v[14:15], v124 offset1:196
	v_fma_f16 v20, v61, v55, -v20
	v_lshrrev_b32_e32 v55, 16, v6
	v_mul_f16_sdwa v59, v60, v5 dst_sel:DWORD dst_unused:UNUSED_PAD src0_sel:WORD_1 src1_sel:DWORD
	v_mul_f16_sdwa v61, v60, v3 dst_sel:DWORD dst_unused:UNUSED_PAD src0_sel:WORD_1 src1_sel:DWORD
	s_waitcnt lgkmcnt(2)
	v_lshrrev_b32_e32 v64, 16, v1
	v_mul_f16_sdwa v65, v45, v1 dst_sel:DWORD dst_unused:UNUSED_PAD src0_sel:WORD_1 src1_sel:DWORD
	v_mul_f16_sdwa v63, v46, v55 dst_sel:DWORD dst_unused:UNUSED_PAD src0_sel:WORD_1 src1_sel:DWORD
	v_fma_f16 v59, v60, v3, -v59
	v_fmac_f16_e32 v61, v60, v5
	v_mul_f16_sdwa v5, v45, v64 dst_sel:DWORD dst_unused:UNUSED_PAD src0_sel:WORD_1 src1_sel:DWORD
	s_waitcnt lgkmcnt(1)
	v_lshrrev_b32_e32 v60, 16, v13
	v_fmac_f16_e32 v63, v46, v6
	v_mul_f16_sdwa v6, v46, v6 dst_sel:DWORD dst_unused:UNUSED_PAD src0_sel:WORD_1 src1_sel:DWORD
	v_mul_f16_sdwa v67, v44, v13 dst_sel:DWORD dst_unused:UNUSED_PAD src0_sel:WORD_1 src1_sel:DWORD
	v_fmac_f16_e32 v5, v45, v1
	v_mul_f16_sdwa v1, v44, v60 dst_sel:DWORD dst_unused:UNUSED_PAD src0_sel:WORD_1 src1_sel:DWORD
	v_fma_f16 v64, v45, v64, -v65
	v_fma_f16 v6, v46, v55, -v6
	v_lshrrev_b32_e32 v66, 16, v2
	s_waitcnt lgkmcnt(0)
	v_lshrrev_b32_e32 v65, 16, v14
	v_fmac_f16_e32 v1, v44, v13
	v_fma_f16 v13, v44, v60, -v67
	v_sub_f16_e32 v5, v14, v5
	v_mul_f16_sdwa v3, v44, v62 dst_sel:DWORD dst_unused:UNUSED_PAD src0_sel:WORD_1 src1_sel:DWORD
	v_sub_f16_e32 v60, v65, v64
	v_sub_f16_e32 v63, v1, v63
	;; [unrolled: 1-line block ×3, first 2 shown]
	v_lshrrev_b32_e32 v64, 16, v4
	v_fma_f16 v14, v14, 2.0, -v5
	v_fma_f16 v65, v65, 2.0, -v60
	;; [unrolled: 1-line block ×4, first 2 shown]
	v_mul_f16_sdwa v55, v45, v66 dst_sel:DWORD dst_unused:UNUSED_PAD src0_sel:WORD_1 src1_sel:DWORD
	v_mul_f16_sdwa v67, v46, v64 dst_sel:DWORD dst_unused:UNUSED_PAD src0_sel:WORD_1 src1_sel:DWORD
	v_fmac_f16_e32 v3, v44, v0
	v_sub_f16_e32 v68, v14, v1
	v_sub_f16_e32 v13, v65, v13
	v_mul_f16_sdwa v0, v44, v0 dst_sel:DWORD dst_unused:UNUSED_PAD src0_sel:WORD_1 src1_sel:DWORD
	v_fmac_f16_e32 v55, v45, v2
	v_mul_f16_sdwa v1, v45, v2 dst_sel:DWORD dst_unused:UNUSED_PAD src0_sel:WORD_1 src1_sel:DWORD
	v_fmac_f16_e32 v67, v46, v4
	v_mul_f16_sdwa v2, v46, v4 dst_sel:DWORD dst_unused:UNUSED_PAD src0_sel:WORD_1 src1_sel:DWORD
	v_fma_f16 v4, v14, 2.0, -v68
	v_fma_f16 v14, v65, 2.0, -v13
	v_fma_f16 v44, v44, v62, -v0
	v_fma_f16 v45, v45, v66, -v1
	;; [unrolled: 1-line block ×3, first 2 shown]
	ds_read2_b32 v[0:1], v114 offset0:8 offset1:204
	v_pack_b32_f16 v4, v4, v14
	v_lshrrev_b32_e32 v14, 16, v15
	v_sub_f16_e32 v46, v60, v63
	v_sub_f16_e32 v55, v15, v55
	;; [unrolled: 1-line block ×5, first 2 shown]
	v_fma_f16 v2, v60, 2.0, -v46
	v_fma_f16 v15, v15, 2.0, -v55
	;; [unrolled: 1-line block ×5, first 2 shown]
	v_add_f16_e32 v6, v5, v6
	v_add_f16_e32 v63, v55, v63
	v_sub_f16_e32 v60, v15, v60
	v_sub_f16_e32 v62, v45, v62
	;; [unrolled: 1-line block ×3, first 2 shown]
	v_fma_f16 v5, v5, 2.0, -v6
	v_sub_f16_e32 v35, v22, v35
	v_fma_f16 v15, v15, 2.0, -v60
	s_waitcnt lgkmcnt(0)
	v_lshrrev_b32_e32 v64, 16, v0
	v_fma_f16 v14, v14, 2.0, -v44
	v_fma_f16 v45, v45, 2.0, -v62
	v_sub_f16_e32 v34, v0, v34
	v_sub_f16_e32 v23, v32, v23
	;; [unrolled: 1-line block ×3, first 2 shown]
	v_pack_b32_f16 v14, v15, v14
	v_fma_f16 v15, v55, 2.0, -v63
	v_pack_b32_f16 v5, v5, v2
	v_pack_b32_f16 v13, v68, v13
	;; [unrolled: 1-line block ×3, first 2 shown]
	v_fma_f16 v22, v22, 2.0, -v35
	v_pack_b32_f16 v15, v15, v45
	v_fma_f16 v45, v64, 2.0, -v33
	v_fma_f16 v0, v0, 2.0, -v34
	v_fma_f16 v32, v32, 2.0, -v23
	ds_read2_b32 v[2:3], v132 offset0:16 offset1:212
	s_waitcnt lgkmcnt(0)
	s_barrier
	buffer_gl0_inv
	ds_write2_b32 v124, v4, v5 offset1:196
	ds_write2_b32 v114, v13, v6 offset0:8 offset1:204
	ds_write2_b32 v132, v14, v15 offset0:16 offset1:212
	v_lshrrev_b32_e32 v13, 16, v1
	v_sub_f16_e32 v4, v0, v22
	v_sub_f16_e32 v5, v45, v32
	;; [unrolled: 1-line block ×6, first 2 shown]
	v_fma_f16 v0, v0, 2.0, -v4
	v_fma_f16 v15, v45, 2.0, -v5
	;; [unrolled: 1-line block ×6, first 2 shown]
	v_add_f16_e32 v23, v34, v23
	v_pack_b32_f16 v0, v0, v15
	v_sub_f16_e32 v15, v33, v35
	v_sub_f16_e32 v35, v1, v39
	;; [unrolled: 1-line block ×3, first 2 shown]
	v_add_f16_e32 v37, v22, v37
	v_sub_f16_e32 v36, v32, v36
	v_fma_f16 v34, v34, 2.0, -v23
	v_fma_f16 v33, v33, 2.0, -v15
	v_pack_b32_f16 v6, v60, v44
	v_pack_b32_f16 v14, v63, v62
	v_fma_f16 v1, v1, 2.0, -v35
	v_fma_f16 v13, v13, 2.0, -v38
	;; [unrolled: 1-line block ×4, first 2 shown]
	v_pack_b32_f16 v33, v34, v33
	v_pack_b32_f16 v4, v4, v5
	;; [unrolled: 1-line block ×5, first 2 shown]
	ds_write2_b32 v112, v6, v14 offset0:24 offset1:220
	ds_write2_b32 v156, v0, v33 offset0:32 offset1:228
	;; [unrolled: 1-line block ×3, first 2 shown]
	v_lshrrev_b32_e32 v0, 16, v2
	v_lshrrev_b32_e32 v5, 16, v3
	v_sub_f16_e32 v14, v7, v49
	ds_write2_b32 v160, v1, v13 offset0:48 offset1:244
	v_sub_f16_e32 v1, v2, v47
	v_sub_f16_e32 v6, v0, v50
	;; [unrolled: 1-line block ×3, first 2 shown]
	v_lshrrev_b32_e32 v23, 16, v12
	v_sub_f16_e32 v4, v3, v51
	v_fma_f16 v2, v2, 2.0, -v1
	v_fma_f16 v0, v0, 2.0, -v6
	;; [unrolled: 1-line block ×4, first 2 shown]
	v_pack_b32_f16 v32, v35, v38
	v_pack_b32_f16 v33, v37, v36
	v_sub_f16_e32 v34, v54, v56
	v_sub_f16_e32 v35, v5, v48
	;; [unrolled: 1-line block ×7, first 2 shown]
	v_fma_f16 v3, v3, 2.0, -v4
	v_sub_f16_e32 v22, v2, v22
	v_sub_f16_e32 v7, v0, v7
	v_fma_f16 v37, v54, 2.0, -v34
	v_add_f16_e32 v14, v1, v14
	v_sub_f16_e32 v13, v6, v13
	v_fma_f16 v5, v5, 2.0, -v35
	v_fma_f16 v38, v53, 2.0, -v36
	;; [unrolled: 1-line block ×8, first 2 shown]
	v_sub_f16_e32 v37, v3, v37
	v_fma_f16 v1, v1, 2.0, -v14
	v_fma_f16 v6, v6, 2.0, -v13
	v_sub_f16_e32 v38, v5, v38
	v_add_f16_e32 v36, v4, v36
	v_sub_f16_e32 v34, v35, v34
	v_sub_f16_e32 v41, v12, v41
	;; [unrolled: 1-line block ×3, first 2 shown]
	v_add_f16_e32 v20, v15, v20
	v_sub_f16_e32 v39, v40, v39
	v_fma_f16 v3, v3, 2.0, -v37
	v_fma_f16 v5, v5, 2.0, -v38
	;; [unrolled: 1-line block ×4, first 2 shown]
	v_pack_b32_f16 v0, v2, v0
	v_pack_b32_f16 v1, v1, v6
	v_fma_f16 v12, v12, 2.0, -v41
	v_fma_f16 v2, v23, 2.0, -v21
	v_fma_f16 v6, v15, 2.0, -v20
	v_fma_f16 v15, v40, 2.0, -v39
	ds_write2_b32 v157, v32, v33 offset0:56 offset1:252
	ds_write2_b32 v161, v0, v1 offset1:196
	v_pack_b32_f16 v0, v22, v7
	v_pack_b32_f16 v1, v14, v13
	;; [unrolled: 1-line block ×10, first 2 shown]
	ds_write2_b32 v159, v0, v1 offset0:8 offset1:204
	ds_write2_b32 v162, v3, v4 offset0:16 offset1:212
	;; [unrolled: 1-line block ×5, first 2 shown]
	s_waitcnt lgkmcnt(0)
	s_barrier
	buffer_gl0_inv
	ds_read2_b32 v[0:1], v132 offset0:16 offset1:212
	ds_read2_b32 v[2:3], v131 offset0:32 offset1:228
	;; [unrolled: 1-line block ×3, first 2 shown]
	ds_read2_b32 v[6:7], v129 offset1:196
	ds_read2_b32 v[12:13], v128 offset0:16 offset1:212
	ds_read2_b32 v[14:15], v125 offset0:32 offset1:228
	;; [unrolled: 1-line block ×5, first 2 shown]
	s_waitcnt lgkmcnt(8)
	v_lshrrev_b32_e32 v34, 16, v0
	s_waitcnt lgkmcnt(7)
	v_lshrrev_b32_e32 v35, 16, v2
	;; [unrolled: 2-line block ×3, first 2 shown]
	v_mul_f16_sdwa v45, v16, v0 dst_sel:DWORD dst_unused:UNUSED_PAD src0_sel:WORD_1 src1_sel:DWORD
	v_mul_f16_sdwa v46, v17, v2 dst_sel:DWORD dst_unused:UNUSED_PAD src0_sel:WORD_1 src1_sel:DWORD
	;; [unrolled: 1-line block ×3, first 2 shown]
	s_waitcnt lgkmcnt(5)
	v_lshrrev_b32_e32 v37, 16, v6
	v_lshrrev_b32_e32 v40, 16, v1
	v_fma_f16 v34, v16, v34, -v45
	v_mul_f16_sdwa v45, v17, v35 dst_sel:DWORD dst_unused:UNUSED_PAD src0_sel:WORD_1 src1_sel:DWORD
	v_fmac_f16_e32 v44, v16, v0
	v_mul_f16_sdwa v0, v18, v4 dst_sel:DWORD dst_unused:UNUSED_PAD src0_sel:WORD_1 src1_sel:DWORD
	v_fma_f16 v35, v17, v35, -v46
	v_mul_f16_sdwa v46, v18, v36 dst_sel:DWORD dst_unused:UNUSED_PAD src0_sel:WORD_1 src1_sel:DWORD
	v_lshrrev_b32_e32 v41, 16, v3
	v_lshrrev_b32_e32 v42, 16, v5
	v_mul_f16_sdwa v16, v19, v6 dst_sel:DWORD dst_unused:UNUSED_PAD src0_sel:WORD_1 src1_sel:DWORD
	v_fma_f16 v36, v18, v36, -v0
	v_mul_f16_sdwa v47, v19, v37 dst_sel:DWORD dst_unused:UNUSED_PAD src0_sel:WORD_1 src1_sel:DWORD
	v_fmac_f16_e32 v46, v18, v4
	v_mul_f16_sdwa v18, v8, v40 dst_sel:DWORD dst_unused:UNUSED_PAD src0_sel:WORD_1 src1_sel:DWORD
	v_mul_f16_sdwa v0, v8, v1 dst_sel:DWORD dst_unused:UNUSED_PAD src0_sel:WORD_1 src1_sel:DWORD
	s_waitcnt lgkmcnt(4)
	v_lshrrev_b32_e32 v38, 16, v12
	s_waitcnt lgkmcnt(3)
	v_lshrrev_b32_e32 v39, 16, v14
	v_fmac_f16_e32 v45, v17, v2
	v_fma_f16 v4, v19, v37, -v16
	v_fmac_f16_e32 v47, v19, v6
	ds_read2_b32 v[16:17], v107 offset0:8 offset1:204
	v_mul_f16_sdwa v6, v9, v41 dst_sel:DWORD dst_unused:UNUSED_PAD src0_sel:WORD_1 src1_sel:DWORD
	v_fmac_f16_e32 v18, v8, v1
	v_fma_f16 v8, v8, v40, -v0
	v_mul_f16_sdwa v37, v10, v42 dst_sel:DWORD dst_unused:UNUSED_PAD src0_sel:WORD_1 src1_sel:DWORD
	v_mul_f16_sdwa v0, v9, v3 dst_sel:DWORD dst_unused:UNUSED_PAD src0_sel:WORD_1 src1_sel:DWORD
	;; [unrolled: 1-line block ×3, first 2 shown]
	v_lshrrev_b32_e32 v19, 16, v13
	v_fmac_f16_e32 v6, v9, v3
	v_lshrrev_b32_e32 v48, 16, v15
	v_fmac_f16_e32 v37, v10, v5
	v_fma_f16 v9, v9, v41, -v0
	v_fma_f16 v10, v10, v42, -v1
	v_mul_f16_sdwa v42, v84, v38 dst_sel:DWORD dst_unused:UNUSED_PAD src0_sel:WORD_1 src1_sel:DWORD
	v_mul_f16_sdwa v0, v84, v12 dst_sel:DWORD dst_unused:UNUSED_PAD src0_sel:WORD_1 src1_sel:DWORD
	v_mul_f16_sdwa v49, v85, v39 dst_sel:DWORD dst_unused:UNUSED_PAD src0_sel:WORD_1 src1_sel:DWORD
	v_mul_f16_sdwa v1, v85, v14 dst_sel:DWORD dst_unused:UNUSED_PAD src0_sel:WORD_1 src1_sel:DWORD
	v_lshrrev_b32_e32 v43, 16, v7
	v_fmac_f16_e32 v42, v84, v12
	v_fma_f16 v12, v84, v38, -v0
	v_mul_f16_sdwa v38, v82, v19 dst_sel:DWORD dst_unused:UNUSED_PAD src0_sel:WORD_1 src1_sel:DWORD
	v_fmac_f16_e32 v49, v85, v14
	v_fma_f16 v14, v85, v39, -v1
	v_mul_f16_sdwa v39, v83, v48 dst_sel:DWORD dst_unused:UNUSED_PAD src0_sel:WORD_1 src1_sel:DWORD
	v_mul_f16_sdwa v40, v11, v43 dst_sel:DWORD dst_unused:UNUSED_PAD src0_sel:WORD_1 src1_sel:DWORD
	s_waitcnt lgkmcnt(3)
	v_lshrrev_b32_e32 v5, 16, v20
	v_mul_f16_sdwa v2, v11, v7 dst_sel:DWORD dst_unused:UNUSED_PAD src0_sel:WORD_1 src1_sel:DWORD
	v_fmac_f16_e32 v38, v82, v13
	v_mul_f16_sdwa v13, v82, v13 dst_sel:DWORD dst_unused:UNUSED_PAD src0_sel:WORD_1 src1_sel:DWORD
	v_mul_f16_sdwa v50, v83, v15 dst_sel:DWORD dst_unused:UNUSED_PAD src0_sel:WORD_1 src1_sel:DWORD
	v_fmac_f16_e32 v39, v83, v15
	v_mul_f16_sdwa v15, v24, v20 dst_sel:DWORD dst_unused:UNUSED_PAD src0_sel:WORD_1 src1_sel:DWORD
	v_fmac_f16_e32 v40, v11, v7
	s_waitcnt lgkmcnt(2)
	v_lshrrev_b32_e32 v7, 16, v22
	s_waitcnt lgkmcnt(1)
	v_lshrrev_b32_e32 v41, 16, v32
	v_fma_f16 v11, v11, v43, -v2
	s_waitcnt lgkmcnt(0)
	v_lshrrev_b32_e32 v43, 16, v16
	ds_read2_b32 v[2:3], v104 offset0:40 offset1:236
	v_fma_f16 v13, v82, v19, -v13
	v_fma_f16 v19, v83, v48, -v50
	v_mul_f16_sdwa v48, v24, v5 dst_sel:DWORD dst_unused:UNUSED_PAD src0_sel:WORD_1 src1_sel:DWORD
	v_mul_f16_sdwa v50, v25, v22 dst_sel:DWORD dst_unused:UNUSED_PAD src0_sel:WORD_1 src1_sel:DWORD
	v_fma_f16 v5, v24, v5, -v15
	v_mul_f16_sdwa v15, v26, v32 dst_sel:DWORD dst_unused:UNUSED_PAD src0_sel:WORD_1 src1_sel:DWORD
	v_mul_f16_sdwa v52, v27, v16 dst_sel:DWORD dst_unused:UNUSED_PAD src0_sel:WORD_1 src1_sel:DWORD
	ds_read2_b32 v[0:1], v105 offset0:24 offset1:220
	v_mul_f16_sdwa v51, v25, v7 dst_sel:DWORD dst_unused:UNUSED_PAD src0_sel:WORD_1 src1_sel:DWORD
	v_fma_f16 v7, v25, v7, -v50
	v_mul_f16_sdwa v50, v26, v41 dst_sel:DWORD dst_unused:UNUSED_PAD src0_sel:WORD_1 src1_sel:DWORD
	v_fma_f16 v15, v26, v41, -v15
	;; [unrolled: 2-line block ×3, first 2 shown]
	v_lshrrev_b32_e32 v52, 16, v21
	v_fmac_f16_e32 v48, v24, v20
	v_fmac_f16_e32 v51, v25, v22
	v_lshrrev_b32_e32 v20, 16, v23
	v_fmac_f16_e32 v41, v27, v16
	v_mul_f16_sdwa v16, v28, v52 dst_sel:DWORD dst_unused:UNUSED_PAD src0_sel:WORD_1 src1_sel:DWORD
	v_lshrrev_b32_e32 v22, 16, v33
	v_fmac_f16_e32 v50, v26, v32
	v_mul_f16_sdwa v24, v28, v21 dst_sel:DWORD dst_unused:UNUSED_PAD src0_sel:WORD_1 src1_sel:DWORD
	v_mul_f16_sdwa v25, v29, v20 dst_sel:DWORD dst_unused:UNUSED_PAD src0_sel:WORD_1 src1_sel:DWORD
	v_lshrrev_b32_e32 v26, 16, v17
	v_fmac_f16_e32 v16, v28, v21
	v_mul_f16_sdwa v21, v30, v22 dst_sel:DWORD dst_unused:UNUSED_PAD src0_sel:WORD_1 src1_sel:DWORD
	v_fma_f16 v24, v28, v52, -v24
	v_fmac_f16_e32 v25, v29, v23
	v_mul_f16_sdwa v27, v31, v26 dst_sel:DWORD dst_unused:UNUSED_PAD src0_sel:WORD_1 src1_sel:DWORD
	v_mul_f16_sdwa v23, v29, v23 dst_sel:DWORD dst_unused:UNUSED_PAD src0_sel:WORD_1 src1_sel:DWORD
	v_fmac_f16_e32 v21, v30, v33
	v_mul_f16_sdwa v28, v30, v33 dst_sel:DWORD dst_unused:UNUSED_PAD src0_sel:WORD_1 src1_sel:DWORD
	s_waitcnt lgkmcnt(1)
	v_lshrrev_b32_e32 v33, 16, v2
	s_waitcnt lgkmcnt(0)
	v_lshrrev_b32_e32 v32, 16, v0
	v_fmac_f16_e32 v27, v31, v17
	v_mul_f16_sdwa v17, v31, v17 dst_sel:DWORD dst_unused:UNUSED_PAD src0_sel:WORD_1 src1_sel:DWORD
	v_fma_f16 v20, v29, v20, -v23
	v_lshrrev_b32_e32 v23, 16, v1
	v_mul_f16_sdwa v29, v87, v33 dst_sel:DWORD dst_unused:UNUSED_PAD src0_sel:WORD_1 src1_sel:DWORD
	v_fma_f16 v22, v30, v22, -v28
	v_mul_f16_sdwa v28, v86, v32 dst_sel:DWORD dst_unused:UNUSED_PAD src0_sel:WORD_1 src1_sel:DWORD
	v_fma_f16 v17, v31, v26, -v17
	v_mul_f16_sdwa v26, v86, v0 dst_sel:DWORD dst_unused:UNUSED_PAD src0_sel:WORD_1 src1_sel:DWORD
	v_lshrrev_b32_e32 v30, 16, v3
	v_mul_f16_sdwa v31, v87, v2 dst_sel:DWORD dst_unused:UNUSED_PAD src0_sel:WORD_1 src1_sel:DWORD
	v_fmac_f16_e32 v29, v87, v2
	v_mul_f16_sdwa v2, v88, v23 dst_sel:DWORD dst_unused:UNUSED_PAD src0_sel:WORD_1 src1_sel:DWORD
	v_fmac_f16_e32 v28, v86, v0
	v_fma_f16 v26, v86, v32, -v26
	v_fma_f16 v31, v87, v33, -v31
	v_mul_f16_sdwa v32, v88, v1 dst_sel:DWORD dst_unused:UNUSED_PAD src0_sel:WORD_1 src1_sel:DWORD
	v_mul_f16_sdwa v33, v89, v30 dst_sel:DWORD dst_unused:UNUSED_PAD src0_sel:WORD_1 src1_sel:DWORD
	;; [unrolled: 1-line block ×3, first 2 shown]
	v_fmac_f16_e32 v2, v88, v1
	ds_read2_b32 v[0:1], v124 offset1:196
	v_fma_f16 v23, v88, v23, -v32
	v_fmac_f16_e32 v33, v89, v3
	v_fma_f16 v3, v89, v30, -v52
	v_add_f16_e32 v30, v44, v49
	v_add_f16_e32 v32, v34, v14
	v_sub_f16_e32 v44, v44, v49
	v_sub_f16_e32 v14, v34, v14
	v_add_f16_e32 v34, v45, v42
	v_add_f16_e32 v49, v35, v12
	v_sub_f16_e32 v42, v45, v42
	v_sub_f16_e32 v12, v35, v12
	;; [unrolled: 4-line block ×4, first 2 shown]
	v_sub_f16_e32 v30, v30, v35
	v_sub_f16_e32 v32, v32, v45
	;; [unrolled: 1-line block ×4, first 2 shown]
	v_add_f16_e32 v54, v46, v42
	v_add_f16_e32 v55, v4, v12
	v_sub_f16_e32 v56, v46, v42
	v_add_f16_e32 v35, v35, v36
	v_sub_f16_e32 v36, v4, v12
	v_sub_f16_e32 v46, v44, v46
	v_sub_f16_e32 v4, v14, v4
	v_sub_f16_e32 v42, v42, v44
	v_sub_f16_e32 v12, v12, v14
	v_add_f16_e32 v45, v45, v47
	v_add_f16_e32 v44, v54, v44
	;; [unrolled: 1-line block ×3, first 2 shown]
	v_mul_f16_e32 v30, 0x3a52, v30
	v_mul_f16_e32 v54, 0x2b26, v34
	v_mul_f16_e32 v32, 0x3a52, v32
	v_mul_f16_e32 v55, 0x2b26, v49
	s_waitcnt lgkmcnt(0)
	v_add_f16_e32 v47, v0, v35
	v_mul_f16_e32 v56, 0x3846, v56
	v_fmamk_f16 v34, v34, 0x2b26, v30
	v_fma_f16 v54, v52, 0x39e0, -v54
	v_fma_f16 v30, v52, 0xb9e0, -v30
	v_mul_f16_e32 v52, 0x3b00, v42
	v_fmamk_f16 v49, v49, 0x2b26, v32
	v_fma_f16 v55, v53, 0x39e0, -v55
	v_fma_f16 v32, v53, 0xb9e0, -v32
	v_add_f16_sdwa v53, v0, v45 dst_sel:DWORD dst_unused:UNUSED_PAD src0_sel:WORD_1 src1_sel:DWORD
	v_mul_f16_e32 v0, 0x3846, v36
	v_fma_f16 v36, v42, 0xbb00, -v56
	v_fmamk_f16 v42, v46, 0xb574, v56
	v_fmac_f16_e32 v52, 0x3574, v46
	v_mul_f16_e32 v46, 0x3b00, v12
	v_fmamk_f16 v35, v35, 0xbcab, v47
	v_fmamk_f16 v45, v45, 0xbcab, v53
	v_fma_f16 v12, v12, 0xbb00, -v0
	v_fmamk_f16 v0, v4, 0xb574, v0
	v_fmac_f16_e32 v46, 0x3574, v4
	v_add_f16_e32 v4, v34, v35
	v_add_f16_e32 v34, v49, v45
	v_fmac_f16_e32 v42, 0xb70e, v44
	v_fmac_f16_e32 v0, 0xb70e, v14
	v_add_f16_e32 v49, v54, v35
	v_add_f16_e32 v30, v30, v35
	v_fmac_f16_e32 v46, 0xb70e, v14
	v_fmac_f16_e32 v12, 0xb70e, v14
	v_add_f16_e32 v14, v0, v4
	v_sub_f16_e32 v35, v34, v42
	v_sub_f16_e32 v4, v4, v0
	v_add_f16_e32 v34, v42, v34
	v_add_f16_e32 v0, v18, v39
	;; [unrolled: 1-line block ×3, first 2 shown]
	v_sub_f16_e32 v18, v18, v39
	v_sub_f16_e32 v8, v8, v19
	v_add_f16_e32 v19, v6, v38
	v_add_f16_e32 v39, v9, v13
	v_sub_f16_e32 v9, v9, v13
	v_add_f16_e32 v13, v37, v40
	v_add_f16_e32 v54, v55, v45
	;; [unrolled: 1-line block ×3, first 2 shown]
	v_fmac_f16_e32 v36, 0xb70e, v44
	v_fmac_f16_e32 v52, 0xb70e, v44
	v_add_f16_e32 v44, v46, v30
	v_sub_f16_e32 v30, v30, v46
	v_sub_f16_e32 v6, v6, v38
	v_add_f16_e32 v38, v10, v11
	v_sub_f16_e32 v37, v40, v37
	v_sub_f16_e32 v10, v11, v10
	v_add_f16_e32 v11, v19, v0
	v_add_f16_e32 v40, v39, v42
	v_sub_f16_e32 v46, v19, v0
	v_sub_f16_e32 v0, v0, v13
	;; [unrolled: 1-line block ×5, first 2 shown]
	v_add_f16_e32 v12, v12, v49
	v_add_f16_e32 v49, v36, v54
	v_sub_f16_e32 v36, v54, v36
	v_add_f16_e32 v32, v52, v32
	v_sub_f16_e32 v52, v39, v42
	v_sub_f16_e32 v42, v42, v38
	;; [unrolled: 1-line block ×3, first 2 shown]
	v_add_f16_e32 v54, v37, v6
	v_add_f16_e32 v11, v13, v11
	;; [unrolled: 1-line block ×4, first 2 shown]
	v_sub_f16_e32 v40, v37, v6
	v_sub_f16_e32 v6, v6, v18
	v_mul_f16_e32 v0, 0x3a52, v0
	v_mul_f16_e32 v56, 0x2b26, v19
	v_sub_f16_e32 v37, v18, v37
	v_add_f16_e32 v18, v54, v18
	v_sub_f16_e32 v54, v10, v9
	v_sub_f16_e32 v10, v8, v10
	;; [unrolled: 1-line block ×3, first 2 shown]
	v_add_f16_e32 v8, v13, v8
	v_add_f16_e32 v13, v1, v11
	v_add_f16_sdwa v57, v1, v38 dst_sel:DWORD dst_unused:UNUSED_PAD src0_sel:WORD_1 src1_sel:DWORD
	v_mul_f16_e32 v1, 0x3a52, v42
	v_fmamk_f16 v19, v19, 0x2b26, v0
	v_mul_f16_e32 v42, 0x2b26, v39
	v_fma_f16 v56, v46, 0x39e0, -v56
	v_fma_f16 v0, v46, 0xb9e0, -v0
	v_mul_f16_e32 v40, 0x3846, v40
	v_mul_f16_e32 v46, 0x3b00, v6
	v_fmamk_f16 v39, v39, 0x2b26, v1
	v_fma_f16 v42, v52, 0x39e0, -v42
	v_fma_f16 v1, v52, 0xb9e0, -v1
	v_mul_f16_e32 v52, 0x3846, v54
	v_fma_f16 v6, v6, 0xbb00, -v40
	v_fmamk_f16 v40, v37, 0xb574, v40
	v_fmac_f16_e32 v46, 0x3574, v37
	v_mul_f16_e32 v37, 0x3b00, v9
	v_fmamk_f16 v11, v11, 0xbcab, v13
	v_fmamk_f16 v38, v38, 0xbcab, v57
	v_fma_f16 v9, v9, 0xbb00, -v52
	v_fmamk_f16 v52, v10, 0xb574, v52
	v_fmac_f16_e32 v37, 0x3574, v10
	v_add_f16_e32 v10, v19, v11
	v_add_f16_e32 v19, v39, v38
	;; [unrolled: 1-line block ×6, first 2 shown]
	v_fmac_f16_e32 v40, 0xb70e, v18
	v_fmac_f16_e32 v6, 0xb70e, v18
	;; [unrolled: 1-line block ×6, first 2 shown]
	v_sub_f16_e32 v11, v19, v40
	v_add_f16_e32 v18, v37, v0
	v_sub_f16_e32 v38, v1, v46
	v_sub_f16_e32 v54, v39, v9
	v_add_f16_e32 v9, v9, v39
	v_add_f16_e32 v39, v6, v42
	v_sub_f16_e32 v6, v42, v6
	v_sub_f16_e32 v37, v0, v37
	v_add_f16_e32 v42, v46, v1
	v_add_f16_e32 v19, v40, v19
	;; [unrolled: 1-line block ×4, first 2 shown]
	v_sub_f16_e32 v5, v5, v31
	v_add_f16_e32 v31, v51, v28
	v_add_f16_e32 v40, v7, v26
	v_sub_f16_e32 v7, v7, v26
	v_add_f16_e32 v26, v50, v41
	v_add_f16_e32 v46, v15, v43
	;; [unrolled: 1-line block ×3, first 2 shown]
	v_sub_f16_e32 v10, v10, v52
	v_sub_f16_e32 v29, v48, v29
	;; [unrolled: 1-line block ×5, first 2 shown]
	v_add_f16_e32 v43, v31, v0
	v_add_f16_e32 v48, v40, v1
	v_sub_f16_e32 v50, v31, v0
	v_sub_f16_e32 v51, v40, v1
	v_sub_f16_e32 v52, v0, v26
	v_sub_f16_e32 v56, v1, v46
	ds_read2_b32 v[0:1], v114 offset0:8 offset1:204
	v_sub_f16_e32 v31, v26, v31
	v_sub_f16_e32 v40, v46, v40
	v_add_f16_e32 v58, v41, v28
	v_add_f16_e32 v26, v26, v43
	;; [unrolled: 1-line block ×4, first 2 shown]
	v_sub_f16_e32 v48, v41, v28
	v_sub_f16_e32 v41, v29, v41
	v_sub_f16_e32 v28, v28, v29
	v_add_f16_e32 v29, v58, v29
	v_sub_f16_e32 v58, v15, v7
	v_sub_f16_e32 v15, v5, v15
	v_mul_f16_e32 v52, 0x3a52, v52
	v_sub_f16_e32 v7, v7, v5
	v_mul_f16_e32 v59, 0x2b26, v31
	v_add_f16_e32 v5, v43, v5
	v_mul_f16_e32 v43, 0x3a52, v56
	v_mul_f16_e32 v56, 0x2b26, v40
	v_fmamk_f16 v31, v31, 0x2b26, v52
	v_fma_f16 v59, v50, 0x39e0, -v59
	v_fma_f16 v50, v50, 0xb9e0, -v52
	v_mul_f16_e32 v48, 0x3846, v48
	v_fmamk_f16 v40, v40, 0x2b26, v43
	v_fma_f16 v52, v51, 0x39e0, -v56
	v_fma_f16 v43, v51, 0xb9e0, -v43
	v_mul_f16_e32 v51, 0x3b00, v28
	v_mul_f16_e32 v56, 0x3846, v58
	s_waitcnt lgkmcnt(0)
	v_add_f16_e32 v58, v0, v26
	v_add_f16_sdwa v0, v0, v46 dst_sel:DWORD dst_unused:UNUSED_PAD src0_sel:WORD_1 src1_sel:DWORD
	v_fma_f16 v28, v28, 0xbb00, -v48
	v_fmamk_f16 v48, v41, 0xb574, v48
	v_fmac_f16_e32 v51, 0x3574, v41
	v_mul_f16_e32 v41, 0x3b00, v7
	v_fmamk_f16 v26, v26, 0xbcab, v58
	v_fmamk_f16 v46, v46, 0xbcab, v0
	v_fma_f16 v7, v7, 0xbb00, -v56
	v_fmamk_f16 v56, v15, 0xb574, v56
	v_fmac_f16_e32 v41, 0x3574, v15
	v_add_f16_e32 v15, v31, v26
	v_add_f16_e32 v31, v59, v26
	;; [unrolled: 1-line block ×5, first 2 shown]
	v_fmac_f16_e32 v48, 0xb70e, v29
	v_fmac_f16_e32 v28, 0xb70e, v29
	v_add_f16_e32 v43, v43, v46
	v_fmac_f16_e32 v7, 0xb70e, v5
	v_fmac_f16_e32 v51, 0xb70e, v29
	;; [unrolled: 1-line block ×3, first 2 shown]
	v_add_f16_e32 v29, v28, v50
	v_sub_f16_e32 v28, v50, v28
	v_sub_f16_e32 v50, v40, v48
	v_add_f16_e32 v40, v48, v40
	v_add_f16_e32 v48, v16, v33
	v_sub_f16_e32 v16, v16, v33
	v_add_f16_e32 v33, v24, v3
	v_sub_f16_e32 v3, v24, v3
	v_add_f16_e32 v24, v25, v2
	v_fmac_f16_e32 v56, 0xb70e, v5
	v_sub_f16_e32 v5, v31, v7
	v_add_f16_e32 v7, v7, v31
	v_add_f16_e32 v31, v41, v26
	v_sub_f16_e32 v26, v26, v41
	v_sub_f16_e32 v41, v43, v51
	v_add_f16_e32 v43, v51, v43
	v_sub_f16_e32 v2, v25, v2
	v_add_f16_e32 v25, v20, v23
	;; [unrolled: 2-line block ×4, first 2 shown]
	v_add_f16_e32 v51, v24, v48
	v_sub_f16_e32 v17, v17, v22
	v_sub_f16_e32 v22, v24, v48
	;; [unrolled: 1-line block ×4, first 2 shown]
	v_add_f16_e32 v23, v23, v51
	v_add_f16_e32 v51, v25, v33
	v_sub_f16_e32 v52, v25, v33
	v_sub_f16_e32 v25, v27, v25
	v_add_f16_e32 v46, v56, v15
	v_sub_f16_e32 v15, v15, v56
	v_sub_f16_e32 v33, v33, v27
	v_add_f16_e32 v56, v21, v2
	v_add_f16_e32 v27, v27, v51
	v_sub_f16_e32 v51, v21, v2
	v_sub_f16_e32 v2, v2, v16
	v_mul_f16_e32 v48, 0x3a52, v48
	v_mul_f16_e32 v60, 0x2b26, v24
	;; [unrolled: 1-line block ×3, first 2 shown]
	v_sub_f16_e32 v21, v16, v21
	v_add_f16_e32 v16, v56, v16
	v_add_f16_e32 v56, v17, v20
	v_sub_f16_e32 v59, v17, v20
	v_sub_f16_e32 v20, v20, v3
	v_fmamk_f16 v24, v24, 0x2b26, v48
	v_mul_f16_e32 v33, 0x3a52, v33
	v_fma_f16 v60, v22, 0x39e0, -v60
	v_fma_f16 v22, v22, 0xb9e0, -v48
	v_mul_f16_e32 v48, 0x3846, v51
	v_fma_f16 v51, v52, 0x39e0, -v61
	v_mul_f16_e32 v61, 0x3b00, v2
	v_sub_f16_e32 v17, v3, v17
	v_add_f16_e32 v3, v56, v3
	v_add_f16_e32 v56, v1, v23
	v_add_f16_sdwa v1, v1, v27 dst_sel:DWORD dst_unused:UNUSED_PAD src0_sel:WORD_1 src1_sel:DWORD
	v_fmamk_f16 v25, v25, 0x2b26, v33
	v_fma_f16 v33, v52, 0xb9e0, -v33
	v_fma_f16 v2, v2, 0xbb00, -v48
	v_mul_f16_e32 v52, 0x3846, v59
	v_fmamk_f16 v48, v21, 0xb574, v48
	v_fmac_f16_e32 v61, 0x3574, v21
	v_mul_f16_e32 v21, 0x3b00, v20
	v_pack_b32_f16 v14, v14, v35
	v_pack_b32_f16 v35, v44, v45
	v_fmamk_f16 v23, v23, 0xbcab, v56
	v_fma_f16 v20, v20, 0xbb00, -v52
	v_fmamk_f16 v52, v17, 0xb574, v52
	v_fmamk_f16 v27, v27, 0xbcab, v1
	v_fmac_f16_e32 v21, 0x3574, v17
	ds_write_b32 v124, v14 offset:3136
	ds_write_b32 v124, v35 offset:6272
	v_pack_b32_f16 v14, v55, v49
	v_pack_b32_f16 v12, v12, v36
	;; [unrolled: 1-line block ×4, first 2 shown]
	v_add_f16_e32 v17, v24, v23
	v_add_f16_e32 v24, v60, v23
	;; [unrolled: 1-line block ×6, first 2 shown]
	v_fmac_f16_e32 v48, 0xb70e, v16
	v_fmac_f16_e32 v20, 0xb70e, v3
	;; [unrolled: 1-line block ×6, first 2 shown]
	v_pack_b32_f16 v44, v47, v53
	v_pack_b32_f16 v13, v13, v57
	ds_write_b32 v124, v14 offset:9408
	ds_write_b32 v124, v12 offset:12544
	ds_write_b32 v124, v30 offset:15680
	ds_write_b32 v124, v4 offset:18816
	ds_write2_b32 v124, v44, v13 offset1:196
	v_pack_b32_f16 v4, v8, v11
	v_pack_b32_f16 v12, v46, v50
	;; [unrolled: 1-line block ×6, first 2 shown]
	v_sub_f16_e32 v3, v24, v20
	v_add_f16_e32 v16, v20, v24
	v_add_f16_e32 v20, v2, v25
	v_sub_f16_e32 v2, v25, v2
	v_add_f16_e32 v24, v21, v22
	v_sub_f16_e32 v21, v22, v21
	v_sub_f16_e32 v22, v27, v61
	v_add_f16_e32 v25, v61, v27
	v_add_f16_e32 v27, v52, v17
	v_sub_f16_e32 v33, v23, v48
	v_pack_b32_f16 v6, v9, v6
	ds_write2_b32 v136, v4, v12 offset0:20 offset1:216
	ds_write2_b32 v137, v8, v13 offset0:36 offset1:232
	;; [unrolled: 1-line block ×3, first 2 shown]
	v_pack_b32_f16 v4, v7, v28
	v_pack_b32_f16 v9, v37, v42
	;; [unrolled: 1-line block ×7, first 2 shown]
	v_sub_f16_e32 v17, v17, v52
	v_add_f16_e32 v23, v48, v23
	v_pack_b32_f16 v8, v27, v33
	ds_write2_b32 v133, v6, v4 offset0:4 offset1:200
	ds_write2_b32 v134, v9, v5 offset0:20 offset1:216
	;; [unrolled: 1-line block ×4, first 2 shown]
	ds_write_b32 v124, v8 offset:5488
	v_pack_b32_f16 v0, v24, v22
	v_pack_b32_f16 v1, v3, v20
	;; [unrolled: 1-line block ×5, first 2 shown]
	ds_write_b32 v124, v0 offset:8624
	ds_write_b32 v124, v1 offset:11760
	ds_write_b32 v124, v2 offset:14896
	ds_write_b32 v124, v3 offset:18032
	ds_write_b32 v124, v4 offset:21168
	s_waitcnt lgkmcnt(0)
	s_barrier
	buffer_gl0_inv
	ds_read2_b32 v[10:11], v124 offset1:196
	s_waitcnt lgkmcnt(0)
	v_lshrrev_b32_e32 v2, 16, v10
	v_mul_f16_sdwa v3, v126, v10 dst_sel:DWORD dst_unused:UNUSED_PAD src0_sel:WORD_1 src1_sel:DWORD
	v_mul_f16_sdwa v0, v126, v2 dst_sel:DWORD dst_unused:UNUSED_PAD src0_sel:WORD_1 src1_sel:DWORD
	v_fma_f16 v2, v126, v2, -v3
	v_fmac_f16_e32 v0, v126, v10
	v_cvt_f32_f16_e32 v2, v2
	v_cvt_f32_f16_e32 v0, v0
	v_cvt_f64_f32_e32 v[2:3], v2
	v_cvt_f64_f32_e32 v[0:1], v0
	v_mul_f64 v[2:3], v[2:3], s[2:3]
	v_mul_f64 v[6:7], v[0:1], s[2:3]
	ds_read2_b32 v[0:1], v132 offset0:16 offset1:212
	v_and_or_b32 v2, 0x1ff, v3, v2
	v_lshrrev_b32_e32 v13, 8, v3
	v_bfe_u32 v14, v3, 20, 11
	s_waitcnt lgkmcnt(0)
	v_lshrrev_b32_e32 v8, 16, v0
	v_and_or_b32 v4, 0x1ff, v7, v6
	v_lshrrev_b32_e32 v5, 8, v7
	v_bfe_u32 v6, v7, 20, 11
	v_add_nc_u32_e32 v19, 0xfffffc10, v14
	v_lshrrev_b32_e32 v20, 16, v7
	v_cmp_ne_u32_e32 vcc_lo, 0, v4
	v_lshrrev_b32_e32 v22, 16, v3
	v_cmp_gt_i32_e64 s0, 1, v19
	v_cndmask_b32_e64 v4, 0, 1, vcc_lo
	v_cmp_ne_u32_e32 vcc_lo, 0, v2
	v_and_or_b32 v10, 0xffe, v5, v4
	v_sub_nc_u32_e32 v4, 0x3f1, v6
	v_mul_f16_sdwa v5, v127, v8 dst_sel:DWORD dst_unused:UNUSED_PAD src0_sel:WORD_1 src1_sel:DWORD
	v_cndmask_b32_e64 v2, 0, 1, vcc_lo
	v_or_b32_e32 v9, 0x1000, v10
	v_med3_i32 v4, v4, 0, 13
	v_fmac_f16_e32 v5, v127, v0
	v_and_or_b32 v2, 0xffe, v13, v2
	v_sub_nc_u32_e32 v13, 0x3f1, v14
	v_mul_f16_sdwa v0, v127, v0 dst_sel:DWORD dst_unused:UNUSED_PAD src0_sel:WORD_1 src1_sel:DWORD
	v_lshrrev_b32_e32 v12, v4, v9
	v_cvt_f32_f16_e32 v5, v5
	v_lshl_or_b32 v14, v19, 12, v2
	v_med3_i32 v13, v13, 0, 13
	v_fma_f16 v0, v127, v8, -v0
	v_lshlrev_b32_e32 v15, v4, v12
	v_cvt_f64_f32_e32 v[4:5], v5
	v_cvt_f32_f16_e32 v0, v0
	v_cmp_ne_u32_e32 vcc_lo, v15, v9
	v_add_nc_u32_e32 v15, 0xfffffc10, v6
	v_or_b32_e32 v6, 0x1000, v2
	v_cndmask_b32_e64 v9, 0, 1, vcc_lo
	v_cmp_gt_i32_e32 vcc_lo, 1, v15
	v_lshrrev_b32_e32 v16, v13, v6
	v_cmp_gt_i32_e64 s1, 31, v15
	v_or_b32_e32 v9, v12, v9
	v_lshl_or_b32 v12, v15, 12, v10
	v_cndmask_b32_e32 v17, v12, v9, vcc_lo
	v_lshlrev_b32_e32 v9, v13, v16
	v_mad_u64_u32 v[12:13], null, s10, v71, 0
	v_and_b32_e32 v18, 7, v17
	v_cmp_ne_u32_e32 vcc_lo, v9, v6
	v_mul_f64 v[8:9], v[4:5], s[2:3]
	v_cvt_f64_f32_e32 v[4:5], v0
	v_mov_b32_e32 v0, v13
	v_cndmask_b32_e64 v6, 0, 1, vcc_lo
	v_cmp_lt_i32_e32 vcc_lo, 5, v18
	v_or_b32_e32 v6, v16, v6
	v_cndmask_b32_e64 v6, v14, v6, s0
	v_cmp_eq_u32_e64 s0, 3, v18
	v_lshrrev_b32_e32 v14, 2, v17
	v_and_b32_e32 v13, 7, v6
	s_or_b32 vcc_lo, s0, vcc_lo
	v_lshrrev_b32_e32 v6, 2, v6
	v_add_co_ci_u32_e32 v14, vcc_lo, 0, v14, vcc_lo
	v_cmp_ne_u32_e32 vcc_lo, 0, v10
	v_cmp_eq_u32_e64 s0, 3, v13
	v_and_or_b32 v8, 0x1ff, v9, v8
	v_cndmask_b32_e64 v16, 0x7c00, v14, s1
	v_lshrrev_b32_e32 v17, 8, v9
	v_cndmask_b32_e64 v10, 0, 1, vcc_lo
	v_cmp_lt_i32_e32 vcc_lo, 5, v13
	v_mul_f64 v[13:14], v[4:5], s[2:3]
	v_bfe_u32 v18, v9, 20, 11
	v_lshl_or_b32 v10, v10, 9, 0x7c00
	s_or_b32 vcc_lo, s0, vcc_lo
	v_add_co_ci_u32_e32 v4, vcc_lo, 0, v6, vcc_lo
	v_cmp_ne_u32_e32 vcc_lo, 0, v8
	ds_read2_b32 v[5:6], v131 offset0:32 offset1:228
	v_cndmask_b32_e64 v8, 0, 1, vcc_lo
	v_cmp_eq_u32_e32 vcc_lo, 0x40f, v15
	v_and_or_b32 v17, 0xffe, v17, v8
	v_cndmask_b32_e32 v10, v16, v10, vcc_lo
	v_sub_nc_u32_e32 v8, 0x3f1, v18
	v_cmp_ne_u32_e32 vcc_lo, 0, v2
	v_and_or_b32 v13, 0x1ff, v14, v13
	v_or_b32_e32 v15, 0x1000, v17
	v_bfe_u32 v24, v14, 20, 11
	v_med3_i32 v16, v8, 0, 13
	v_cndmask_b32_e64 v2, 0, 1, vcc_lo
	v_cmp_gt_i32_e32 vcc_lo, 31, v19
	v_mad_u64_u32 v[7:8], null, s8, v121, 0
	v_lshrrev_b32_e32 v21, v16, v15
	v_lshl_or_b32 v2, v2, 9, 0x7c00
	v_cndmask_b32_e32 v4, 0x7c00, v4, vcc_lo
	v_cmp_eq_u32_e32 vcc_lo, 0x40f, v19
	s_waitcnt lgkmcnt(0)
	v_lshrrev_b32_e32 v23, 16, v5
	v_add_nc_u32_e32 v18, 0xfffffc10, v18
	v_and_or_b32 v10, 0x8000, v20, v10
	v_cndmask_b32_e32 v19, v4, v2, vcc_lo
	v_lshlrev_b32_e32 v4, v16, v21
	v_cmp_ne_u32_e32 vcc_lo, 0, v13
	v_mad_u64_u32 v[2:3], null, s11, v71, v[0:1]
	v_mul_f16_sdwa v3, v123, v23 dst_sel:DWORD dst_unused:UNUSED_PAD src0_sel:WORD_1 src1_sel:DWORD
	v_mov_b32_e32 v0, v8
	v_cndmask_b32_e64 v8, 0, 1, vcc_lo
	v_lshrrev_b32_e32 v13, 8, v14
	v_cmp_ne_u32_e32 vcc_lo, v4, v15
	v_fmac_f16_e32 v3, v123, v5
	v_mad_u64_u32 v[15:16], null, s9, v121, v[0:1]
	v_and_or_b32 v25, 0xffe, v13, v8
	v_cndmask_b32_e64 v4, 0, 1, vcc_lo
	v_sub_nc_u32_e32 v8, 0x3f1, v24
	v_cvt_f32_f16_e32 v3, v3
	v_cmp_gt_i32_e32 vcc_lo, 1, v18
	v_or_b32_e32 v26, 0x1000, v25
	v_or_b32_e32 v13, v21, v4
	v_lshl_or_b32 v21, v18, 12, v17
	v_med3_i32 v8, v8, 0, 13
	v_cvt_f64_f32_e32 v[3:4], v3
	v_and_or_b32 v19, 0x8000, v22, v19
	v_and_b32_e32 v10, 0xffff, v10
	v_cndmask_b32_e32 v0, v21, v13, vcc_lo
	v_lshrrev_b32_e32 v16, v8, v26
	v_mov_b32_e32 v13, v2
	v_mul_f16_sdwa v2, v123, v5 dst_sel:DWORD dst_unused:UNUSED_PAD src0_sel:WORD_1 src1_sel:DWORD
	v_lshl_or_b32 v19, v19, 16, v10
	v_and_b32_e32 v20, 7, v0
	v_lshlrev_b32_e32 v21, v8, v16
	v_lshrrev_b32_e32 v0, 2, v0
	v_fma_f16 v2, v123, v23, -v2
	v_mov_b32_e32 v8, v15
	v_cmp_lt_i32_e32 vcc_lo, 5, v20
	v_cmp_eq_u32_e64 s0, 3, v20
	v_cmp_ne_u32_e64 s1, v21, v26
	v_cvt_f32_f16_e32 v2, v2
	v_add_nc_u32_e32 v20, 0xfffffc10, v24
	v_lshlrev_b64 v[12:13], 2, v[12:13]
	s_or_b32 vcc_lo, s0, vcc_lo
	v_cndmask_b32_e64 v15, 0, 1, s1
	v_add_co_ci_u32_e32 v0, vcc_lo, 0, v0, vcc_lo
	v_cmp_ne_u32_e32 vcc_lo, 0, v17
	v_mul_f64 v[4:5], v[3:4], s[2:3]
	v_or_b32_e32 v3, v16, v15
	v_cvt_f64_f32_e32 v[15:16], v2
	v_lshl_or_b32 v21, v20, 12, v25
	v_cndmask_b32_e64 v17, 0, 1, vcc_lo
	v_cmp_gt_i32_e32 vcc_lo, 1, v20
	v_lshlrev_b64 v[7:8], 2, v[7:8]
	v_lshl_or_b32 v17, v17, 9, 0x7c00
	v_cndmask_b32_e32 v10, v21, v3, vcc_lo
	ds_read2_b32 v[2:3], v130 offset0:48 offset1:244
	v_cmp_gt_i32_e32 vcc_lo, 31, v18
	v_and_b32_e32 v21, 7, v10
	v_cndmask_b32_e32 v0, 0x7c00, v0, vcc_lo
	v_add_co_u32 v22, vcc_lo, s4, v12
	v_add_co_ci_u32_e32 v23, vcc_lo, s5, v13, vcc_lo
	v_cmp_eq_u32_e32 vcc_lo, 0x40f, v18
	v_lshrrev_b32_e32 v12, 16, v9
	v_lshrrev_b32_e32 v13, 2, v10
	v_mul_f64 v[9:10], v[15:16], s[2:3]
	v_and_or_b32 v4, 0x1ff, v5, v4
	v_cndmask_b32_e32 v0, v0, v17, vcc_lo
	v_cmp_lt_i32_e32 vcc_lo, 5, v21
	v_cmp_eq_u32_e64 s0, 3, v21
	v_lshrrev_b32_e32 v15, 8, v5
	s_waitcnt lgkmcnt(0)
	v_lshrrev_b32_e32 v17, 16, v2
	v_cmp_ne_u32_e64 s1, 0, v4
	v_bfe_u32 v16, v5, 20, 11
	s_or_b32 vcc_lo, s0, vcc_lo
	v_and_or_b32 v0, 0x8000, v12, v0
	v_add_co_ci_u32_e32 v13, vcc_lo, 0, v13, vcc_lo
	v_mul_f16_sdwa v18, v122, v17 dst_sel:DWORD dst_unused:UNUSED_PAD src0_sel:WORD_1 src1_sel:DWORD
	v_cmp_ne_u32_e32 vcc_lo, 0, v25
	v_cndmask_b32_e64 v4, 0, 1, s1
	v_and_b32_e32 v0, 0xffff, v0
	s_mul_i32 s0, s9, 0xc40
	v_fmac_f16_e32 v18, v122, v2
	v_cndmask_b32_e64 v21, 0, 1, vcc_lo
	v_cmp_gt_i32_e32 vcc_lo, 31, v20
	v_and_or_b32 v4, 0xffe, v15, v4
	v_sub_nc_u32_e32 v15, 0x3f1, v16
	v_cvt_f32_f16_e32 v18, v18
	v_lshl_or_b32 v21, v21, 9, 0x7c00
	v_cndmask_b32_e32 v13, 0x7c00, v13, vcc_lo
	v_cmp_eq_u32_e32 vcc_lo, 0x40f, v20
	v_or_b32_e32 v24, 0x1000, v4
	v_med3_i32 v15, v15, 0, 13
	v_and_or_b32 v9, 0x1ff, v10, v9
	v_lshrrev_b32_e32 v26, 8, v10
	v_cndmask_b32_e32 v20, v13, v21, vcc_lo
	v_cvt_f64_f32_e32 v[12:13], v18
	v_lshrrev_b32_e32 v25, v15, v24
	v_cmp_ne_u32_e32 vcc_lo, 0, v9
	v_bfe_u32 v27, v10, 20, 11
	v_lshrrev_b32_e32 v21, 16, v14
	v_add_nc_u32_e32 v16, 0xfffffc10, v16
	v_lshlrev_b32_e32 v18, v15, v25
	v_cndmask_b32_e64 v9, 0, 1, vcc_lo
	v_add_co_u32 v14, vcc_lo, v22, v7
	v_add_co_ci_u32_e32 v15, vcc_lo, v23, v8, vcc_lo
	v_cmp_ne_u32_e32 vcc_lo, v18, v24
	v_and_or_b32 v18, 0xffe, v26, v9
	v_sub_nc_u32_e32 v9, 0x3f1, v27
	v_and_or_b32 v7, 0x8000, v21, v20
	v_lshl_or_b32 v23, v16, 12, v4
	v_cndmask_b32_e64 v8, 0, 1, vcc_lo
	v_or_b32_e32 v21, 0x1000, v18
	v_med3_i32 v22, v9, 0, 13
	v_mul_f16_sdwa v2, v122, v2 dst_sel:DWORD dst_unused:UNUSED_PAD src0_sel:WORD_1 src1_sel:DWORD
	global_store_dword v[14:15], v19, off
	v_or_b32_e32 v20, v25, v8
	v_cmp_gt_i32_e32 vcc_lo, 1, v16
	v_lshrrev_b32_e32 v19, v22, v21
	v_mul_f64 v[8:9], v[12:13], s[2:3]
	v_fma_f16 v2, v122, v17, -v2
	s_mul_hi_u32 s4, s8, 0xc40
	v_cndmask_b32_e32 v20, v23, v20, vcc_lo
	v_lshlrev_b32_e32 v17, v22, v19
	v_lshl_or_b32 v0, v7, 16, v0
	v_cvt_f32_f16_e32 v2, v2
	s_add_i32 s4, s4, s0
	v_and_b32_e32 v7, 7, v20
	v_cmp_ne_u32_e64 s0, v17, v21
	v_add_nc_u32_e32 v21, 0xfffffc10, v27
	v_cvt_f64_f32_e32 v[12:13], v2
	v_cmp_eq_u32_e64 s1, 0x40f, v16
	v_cmp_lt_i32_e32 vcc_lo, 5, v7
	v_cndmask_b32_e64 v2, 0, 1, s0
	v_cmp_eq_u32_e64 s0, 3, v7
	v_lshrrev_b32_e32 v7, 2, v20
	v_lshl_or_b32 v17, v21, 12, v18
	v_lshrrev_b32_e32 v5, 16, v5
	v_or_b32_e32 v2, v19, v2
	s_or_b32 vcc_lo, s0, vcc_lo
	v_lshrrev_b32_e32 v10, 16, v10
	v_add_co_ci_u32_e32 v19, vcc_lo, 0, v7, vcc_lo
	v_and_or_b32 v8, 0x1ff, v9, v8
	v_cmp_gt_i32_e32 vcc_lo, 1, v21
	v_lshrrev_b32_e32 v20, 8, v9
	v_bfe_u32 v22, v9, 20, 11
	s_mul_i32 s5, s8, 0xc40
	v_lshrrev_b32_e32 v9, 16, v9
	v_cndmask_b32_e32 v2, v17, v2, vcc_lo
	v_cmp_ne_u32_e32 vcc_lo, 0, v8
	ds_read2_b32 v[7:8], v129 offset1:196
	v_mul_f64 v[12:13], v[12:13], s[2:3]
	v_and_b32_e32 v23, 7, v2
	v_cndmask_b32_e64 v17, 0, 1, vcc_lo
	v_cmp_ne_u32_e32 vcc_lo, 0, v4
	v_lshrrev_b32_e32 v2, 2, v2
	v_cmp_eq_u32_e64 s0, 3, v23
	v_and_or_b32 v20, 0xffe, v20, v17
	v_cndmask_b32_e64 v4, 0, 1, vcc_lo
	v_cmp_gt_i32_e32 vcc_lo, 31, v16
	v_sub_nc_u32_e32 v17, 0x3f1, v22
	v_add_nc_u32_e32 v22, 0xfffffc10, v22
	v_or_b32_e32 v24, 0x1000, v20
	v_lshl_or_b32 v4, v4, 9, 0x7c00
	v_cndmask_b32_e32 v19, 0x7c00, v19, vcc_lo
	v_cmp_lt_i32_e32 vcc_lo, 5, v23
	v_med3_i32 v17, v17, 0, 13
	s_waitcnt lgkmcnt(0)
	v_lshrrev_b32_e32 v23, 16, v7
	v_cndmask_b32_e64 v4, v19, v4, s1
	s_or_b32 vcc_lo, s0, vcc_lo
	v_lshrrev_b32_e32 v19, v17, v24
	v_add_co_ci_u32_e32 v2, vcc_lo, 0, v2, vcc_lo
	v_cmp_ne_u32_e32 vcc_lo, 0, v18
	v_and_or_b32 v12, 0x1ff, v13, v12
	v_lshlrev_b32_e32 v16, v17, v19
	v_mul_f16_sdwa v17, v120, v23 dst_sel:DWORD dst_unused:UNUSED_PAD src0_sel:WORD_1 src1_sel:DWORD
	v_lshrrev_b32_e32 v25, 8, v13
	v_cndmask_b32_e64 v18, 0, 1, vcc_lo
	v_cmp_gt_i32_e32 vcc_lo, 31, v21
	v_bfe_u32 v26, v13, 20, 11
	v_fmac_f16_e32 v17, v120, v7
	v_mul_f16_sdwa v7, v120, v7 dst_sel:DWORD dst_unused:UNUSED_PAD src0_sel:WORD_1 src1_sel:DWORD
	v_lshl_or_b32 v18, v18, 9, 0x7c00
	v_cndmask_b32_e32 v2, 0x7c00, v2, vcc_lo
	v_cmp_ne_u32_e32 vcc_lo, v16, v24
	v_cvt_f32_f16_e32 v16, v17
	v_fma_f16 v7, v120, v23, -v7
	v_and_or_b32 v4, 0x8000, v5, v4
	v_lshrrev_b32_e32 v13, 16, v13
	v_cndmask_b32_e64 v24, 0, 1, vcc_lo
	v_cmp_ne_u32_e32 vcc_lo, 0, v12
	v_cvt_f64_f32_e32 v[16:17], v16
	v_cvt_f32_f16_e32 v7, v7
	v_or_b32_e32 v19, v19, v24
	v_cndmask_b32_e64 v12, 0, 1, vcc_lo
	v_cmp_eq_u32_e32 vcc_lo, 0x40f, v21
	v_lshl_or_b32 v24, v22, 12, v20
	v_and_or_b32 v12, 0xffe, v25, v12
	v_cndmask_b32_e32 v2, v2, v18, vcc_lo
	v_cmp_gt_i32_e32 vcc_lo, 1, v22
	v_sub_nc_u32_e32 v25, 0x3f1, v26
	v_or_b32_e32 v21, 0x1000, v12
	v_and_or_b32 v2, 0x8000, v10, v2
	v_cndmask_b32_e32 v18, v24, v19, vcc_lo
	v_med3_i32 v19, v25, 0, 13
	v_and_b32_e32 v24, 7, v18
	v_lshrrev_b32_e32 v5, v19, v21
	v_lshrrev_b32_e32 v10, 2, v18
	v_mul_f64 v[16:17], v[16:17], s[2:3]
	v_cmp_lt_i32_e32 vcc_lo, 5, v24
	v_cmp_eq_u32_e64 s0, 3, v24
	v_lshlrev_b32_e32 v23, v19, v5
	v_cvt_f64_f32_e32 v[18:19], v7
	s_or_b32 vcc_lo, s0, vcc_lo
	v_add_co_ci_u32_e32 v7, vcc_lo, 0, v10, vcc_lo
	v_cmp_ne_u32_e32 vcc_lo, v23, v21
	v_and_b32_e32 v21, 0xffff, v4
	v_add_nc_u32_e32 v23, 0xfffffc10, v26
	v_cndmask_b32_e64 v10, 0, 1, vcc_lo
	v_cmp_ne_u32_e32 vcc_lo, 0, v20
	v_lshl_or_b32 v24, v23, 12, v12
	v_lshl_or_b32 v2, v2, 16, v21
	v_or_b32_e32 v10, v5, v10
	ds_read2_b32 v[4:5], v128 offset0:16 offset1:212
	v_cndmask_b32_e64 v20, 0, 1, vcc_lo
	v_cmp_gt_i32_e32 vcc_lo, 31, v22
	v_and_or_b32 v16, 0x1ff, v17, v16
	v_mul_f64 v[18:19], v[18:19], s[2:3]
	v_bfe_u32 v25, v17, 20, 11
	v_lshl_or_b32 v20, v20, 9, 0x7c00
	v_cndmask_b32_e32 v7, 0x7c00, v7, vcc_lo
	v_add_co_u32 v14, vcc_lo, v14, s5
	v_add_co_ci_u32_e32 v15, vcc_lo, s4, v15, vcc_lo
	v_cmp_gt_i32_e32 vcc_lo, 1, v23
	v_cndmask_b32_e32 v10, v24, v10, vcc_lo
	v_cmp_eq_u32_e32 vcc_lo, 0x40f, v22
	v_lshrrev_b32_e32 v24, 8, v17
	s_waitcnt lgkmcnt(0)
	v_lshrrev_b32_e32 v26, 16, v4
	v_lshrrev_b32_e32 v17, 16, v17
	v_and_b32_e32 v22, 7, v10
	v_cndmask_b32_e32 v7, v7, v20, vcc_lo
	v_cmp_ne_u32_e32 vcc_lo, 0, v16
	v_mul_f16_sdwa v27, v119, v26 dst_sel:DWORD dst_unused:UNUSED_PAD src0_sel:WORD_1 src1_sel:DWORD
	v_lshrrev_b32_e32 v10, 2, v10
	v_cmp_eq_u32_e64 s0, 3, v22
	v_and_or_b32 v7, 0x8000, v9, v7
	v_cndmask_b32_e64 v16, 0, 1, vcc_lo
	v_add_co_u32 v20, vcc_lo, v14, s5
	v_add_co_ci_u32_e32 v21, vcc_lo, s4, v15, vcc_lo
	v_cmp_lt_i32_e32 vcc_lo, 5, v22
	v_and_or_b32 v16, 0xffe, v24, v16
	v_sub_nc_u32_e32 v24, 0x3f1, v25
	v_fmac_f16_e32 v27, v119, v4
	v_and_or_b32 v18, 0x1ff, v19, v18
	s_or_b32 vcc_lo, s0, vcc_lo
	v_or_b32_e32 v28, 0x1000, v16
	v_med3_i32 v9, v24, 0, 13
	v_cvt_f32_f16_e32 v24, v27
	v_add_co_ci_u32_e32 v27, vcc_lo, 0, v10, vcc_lo
	v_cmp_ne_u32_e32 vcc_lo, 0, v12
	v_lshrrev_b32_e32 v22, v9, v28
	v_bfe_u32 v30, v19, 20, 11
	v_mul_f16_sdwa v4, v119, v4 dst_sel:DWORD dst_unused:UNUSED_PAD src0_sel:WORD_1 src1_sel:DWORD
	v_add_nc_u32_e32 v25, 0xfffffc10, v25
	v_cndmask_b32_e64 v12, 0, 1, vcc_lo
	v_cmp_ne_u32_e32 vcc_lo, 0, v18
	v_lshlrev_b32_e32 v29, v9, v22
	v_cvt_f64_f32_e32 v[9:10], v24
	v_lshrrev_b32_e32 v24, 8, v19
	v_lshl_or_b32 v12, v12, 9, 0x7c00
	v_cndmask_b32_e64 v18, 0, 1, vcc_lo
	v_cmp_gt_i32_e32 vcc_lo, 31, v23
	v_fma_f16 v4, v119, v26, -v4
	v_lshl_or_b32 v26, v25, 12, v16
	v_and_b32_e32 v7, 0xffff, v7
	v_and_or_b32 v18, 0xffe, v24, v18
	v_cndmask_b32_e32 v27, 0x7c00, v27, vcc_lo
	v_cmp_ne_u32_e32 vcc_lo, v29, v28
	v_sub_nc_u32_e32 v24, 0x3f1, v30
	v_cvt_f32_f16_e32 v4, v4
	v_or_b32_e32 v29, 0x1000, v18
	global_store_dword v[14:15], v0, off
	global_store_dword v[20:21], v2, off
	v_cndmask_b32_e64 v28, 0, 1, vcc_lo
	v_med3_i32 v24, v24, 0, 13
	v_cmp_eq_u32_e32 vcc_lo, 0x40f, v23
	v_or_b32_e32 v28, v22, v28
	v_cndmask_b32_e32 v12, v27, v12, vcc_lo
	v_lshrrev_b32_e32 v27, v24, v29
	v_cmp_gt_i32_e32 vcc_lo, 1, v25
	v_mul_f64 v[22:23], v[9:10], s[2:3]
	v_cvt_f64_f32_e32 v[9:10], v4
	v_and_or_b32 v4, 0x8000, v13, v12
	v_lshlrev_b32_e32 v12, v24, v27
	v_cndmask_b32_e32 v26, v26, v28, vcc_lo
	v_lshl_or_b32 v0, v4, 16, v7
	v_cmp_ne_u32_e32 vcc_lo, v12, v29
	v_and_b32_e32 v13, 7, v26
	v_lshrrev_b32_e32 v7, 2, v26
	v_add_nc_u32_e32 v4, 0xfffffc10, v30
	v_cndmask_b32_e64 v2, 0, 1, vcc_lo
	v_cmp_lt_i32_e32 vcc_lo, 5, v13
	v_cmp_eq_u32_e64 s0, 3, v13
	v_lshl_or_b32 v12, v4, 12, v18
	v_or_b32_e32 v2, v27, v2
	s_or_b32 vcc_lo, s0, vcc_lo
	v_add_co_ci_u32_e32 v7, vcc_lo, 0, v7, vcc_lo
	v_cmp_gt_i32_e32 vcc_lo, 1, v4
	v_and_or_b32 v22, 0x1ff, v23, v22
	v_bfe_u32 v24, v23, 20, 11
	v_cndmask_b32_e32 v2, v12, v2, vcc_lo
	v_add_co_u32 v14, vcc_lo, v20, s5
	v_add_co_ci_u32_e32 v15, vcc_lo, s4, v21, vcc_lo
	v_cmp_ne_u32_e32 vcc_lo, 0, v16
	v_mul_f64 v[12:13], v[9:10], s[2:3]
	ds_read2_b32 v[9:10], v125 offset0:32 offset1:228
	v_and_b32_e32 v20, 7, v2
	v_lshrrev_b32_e32 v2, 2, v2
	v_cndmask_b32_e64 v16, 0, 1, vcc_lo
	v_cmp_ne_u32_e32 vcc_lo, 0, v22
	v_lshrrev_b32_e32 v22, 8, v23
	v_cmp_eq_u32_e64 s0, 3, v20
	global_store_dword v[14:15], v0, off
	v_lshl_or_b32 v16, v16, 9, 0x7c00
	v_cndmask_b32_e64 v21, 0, 1, vcc_lo
	v_cmp_gt_i32_e32 vcc_lo, 31, v25
	v_lshrrev_b32_e32 v23, 16, v23
	v_and_or_b32 v22, 0xffe, v22, v21
	v_cndmask_b32_e32 v7, 0x7c00, v7, vcc_lo
	v_cmp_lt_i32_e32 vcc_lo, 5, v20
	v_sub_nc_u32_e32 v21, 0x3f1, v24
	v_add_nc_u32_e32 v24, 0xfffffc10, v24
	v_or_b32_e32 v26, 0x1000, v22
	s_waitcnt lgkmcnt(0)
	v_lshrrev_b32_e32 v27, 16, v9
	s_or_b32 vcc_lo, s0, vcc_lo
	v_med3_i32 v20, v21, 0, 13
	v_add_co_ci_u32_e32 v2, vcc_lo, 0, v2, vcc_lo
	v_cmp_ne_u32_e32 vcc_lo, 0, v18
	v_mul_f16_sdwa v21, v118, v27 dst_sel:DWORD dst_unused:UNUSED_PAD src0_sel:WORD_1 src1_sel:DWORD
	v_and_or_b32 v12, 0x1ff, v13, v12
	v_lshrrev_b32_e32 v28, v20, v26
	v_cndmask_b32_e64 v18, 0, 1, vcc_lo
	v_cmp_eq_u32_e32 vcc_lo, 0x40f, v25
	v_fmac_f16_e32 v21, v118, v9
	v_lshlrev_b32_e32 v29, v20, v28
	v_bfe_u32 v25, v13, 20, 11
	v_mul_f16_sdwa v9, v118, v9 dst_sel:DWORD dst_unused:UNUSED_PAD src0_sel:WORD_1 src1_sel:DWORD
	v_cndmask_b32_e32 v7, v7, v16, vcc_lo
	v_cmp_ne_u32_e32 vcc_lo, 0, v12
	v_cvt_f32_f16_e32 v20, v21
	v_lshrrev_b32_e32 v16, 8, v13
	v_fma_f16 v9, v118, v27, -v9
	v_lshl_or_b32 v18, v18, 9, 0x7c00
	v_cndmask_b32_e64 v12, 0, 1, vcc_lo
	v_cmp_gt_i32_e32 vcc_lo, 31, v4
	v_cvt_f64_f32_e32 v[20:21], v20
	v_cvt_f32_f16_e32 v9, v9
	v_and_or_b32 v7, 0x8000, v17, v7
	v_and_or_b32 v12, 0xffe, v16, v12
	v_cndmask_b32_e32 v2, 0x7c00, v2, vcc_lo
	v_sub_nc_u32_e32 v16, 0x3f1, v25
	v_cmp_ne_u32_e32 vcc_lo, v29, v26
	v_and_b32_e32 v7, 0xffff, v7
	v_or_b32_e32 v29, 0x1000, v12
	v_med3_i32 v16, v16, 0, 13
	v_cndmask_b32_e64 v26, 0, 1, vcc_lo
	v_cmp_gt_i32_e32 vcc_lo, 1, v24
	v_lshrrev_b32_e32 v30, v16, v29
	v_or_b32_e32 v26, v28, v26
	v_lshl_or_b32 v28, v24, 12, v22
	v_lshlrev_b32_e32 v27, v16, v30
	v_cndmask_b32_e32 v26, v28, v26, vcc_lo
	v_cmp_eq_u32_e32 vcc_lo, 0x40f, v4
	v_lshrrev_b32_e32 v4, 16, v19
	v_cmp_ne_u32_e64 s0, v27, v29
	v_mul_f64 v[16:17], v[20:21], s[2:3]
	v_and_b32_e32 v28, 7, v26
	v_cndmask_b32_e32 v2, v2, v18, vcc_lo
	v_cvt_f64_f32_e32 v[18:19], v9
	v_lshrrev_b32_e32 v20, 2, v26
	v_add_nc_u32_e32 v9, 0xfffffc10, v25
	v_cmp_lt_i32_e32 vcc_lo, 5, v28
	v_and_or_b32 v2, 0x8000, v4, v2
	v_cndmask_b32_e64 v4, 0, 1, s0
	v_cmp_eq_u32_e64 s0, 3, v28
	v_lshl_or_b32 v21, v9, 12, v12
	v_lshl_or_b32 v2, v2, 16, v7
	v_or_b32_e32 v4, v30, v4
	s_or_b32 vcc_lo, s0, vcc_lo
	v_mul_f16_sdwa v30, v116, v11 dst_sel:DWORD dst_unused:UNUSED_PAD src0_sel:WORD_1 src1_sel:DWORD
	v_add_co_ci_u32_e32 v20, vcc_lo, 0, v20, vcc_lo
	v_cmp_ne_u32_e32 vcc_lo, 0, v22
	v_and_or_b32 v7, 0x1ff, v17, v16
	v_cndmask_b32_e64 v22, 0, 1, vcc_lo
	v_cmp_gt_i32_e32 vcc_lo, 1, v9
	v_mul_f64 v[18:19], v[18:19], s[2:3]
	v_bfe_u32 v25, v17, 20, 11
	v_lshl_or_b32 v22, v22, 9, 0x7c00
	v_cndmask_b32_e32 v0, v21, v4, vcc_lo
	v_lshrrev_b32_e32 v4, 16, v11
	v_cmp_gt_i32_e32 vcc_lo, 31, v24
	v_lshrrev_b32_e32 v21, 8, v17
	v_lshrrev_b32_e32 v17, 16, v17
	v_and_b32_e32 v26, 7, v0
	v_lshrrev_b32_e32 v0, 2, v0
	v_cndmask_b32_e32 v16, 0x7c00, v20, vcc_lo
	v_mul_f16_sdwa v20, v116, v4 dst_sel:DWORD dst_unused:UNUSED_PAD src0_sel:WORD_1 src1_sel:DWORD
	v_cmp_ne_u32_e32 vcc_lo, 0, v7
	v_cmp_eq_u32_e64 s0, 3, v26
	v_fma_f16 v4, v116, v4, -v30
	v_fmac_f16_e32 v20, v116, v11
	v_cndmask_b32_e64 v7, 0, 1, vcc_lo
	v_cmp_eq_u32_e32 vcc_lo, 0x40f, v24
	v_cvt_f32_f16_e32 v4, v4
	v_cvt_f32_f16_e32 v20, v20
	v_and_or_b32 v7, 0xffe, v21, v7
	v_sub_nc_u32_e32 v21, 0x3f1, v25
	v_cndmask_b32_e32 v16, v16, v22, vcc_lo
	v_cmp_lt_i32_e32 vcc_lo, 5, v26
	v_and_or_b32 v18, 0x1ff, v19, v18
	v_or_b32_e32 v22, 0x1000, v7
	v_med3_i32 v24, v21, 0, 13
	v_cvt_f64_f32_e32 v[20:21], v20
	s_or_b32 vcc_lo, s0, vcc_lo
	v_lshrrev_b32_e32 v27, 8, v19
	v_add_co_ci_u32_e32 v0, vcc_lo, 0, v0, vcc_lo
	v_cmp_ne_u32_e32 vcc_lo, 0, v12
	v_lshrrev_b32_e32 v26, v24, v22
	v_bfe_u32 v28, v19, 20, 11
	v_and_or_b32 v16, 0x8000, v23, v16
	v_cndmask_b32_e64 v12, 0, 1, vcc_lo
	v_cmp_ne_u32_e32 vcc_lo, 0, v18
	v_lshlrev_b32_e32 v24, v24, v26
	v_lshl_or_b32 v29, v12, 9, 0x7c00
	v_cndmask_b32_e64 v18, 0, 1, vcc_lo
	v_cmp_gt_i32_e32 vcc_lo, 31, v9
	v_and_or_b32 v18, 0xffe, v27, v18
	v_cndmask_b32_e32 v0, 0x7c00, v0, vcc_lo
	v_sub_nc_u32_e32 v27, 0x3f1, v28
	v_cmp_ne_u32_e32 vcc_lo, v24, v22
	v_mul_f64 v[11:12], v[20:21], s[2:3]
	v_add_nc_u32_e32 v24, 0xfffffc10, v25
	v_or_b32_e32 v25, 0x1000, v18
	v_med3_i32 v27, v27, 0, 13
	v_cndmask_b32_e64 v22, 0, 1, vcc_lo
	v_cmp_eq_u32_e32 vcc_lo, 0x40f, v9
	v_cvt_f64_f32_e32 v[20:21], v4
	v_or_b32_e32 v9, v26, v22
	v_cndmask_b32_e32 v0, v0, v29, vcc_lo
	v_lshl_or_b32 v22, v24, 12, v7
	v_lshrrev_b32_e32 v26, v27, v25
	v_cmp_gt_i32_e32 vcc_lo, 1, v24
	v_lshrrev_b32_e32 v29, 16, v13
	v_cndmask_b32_e32 v4, v22, v9, vcc_lo
	v_lshlrev_b32_e32 v9, v27, v26
	v_add_co_u32 v13, vcc_lo, v14, s5
	v_add_co_ci_u32_e32 v14, vcc_lo, s4, v15, vcc_lo
	v_and_b32_e32 v15, 7, v4
	v_cmp_ne_u32_e32 vcc_lo, v9, v25
	v_and_or_b32 v9, 0x1ff, v12, v11
	global_store_dword v[13:14], v2, off
	v_lshrrev_b32_e32 v4, 2, v4
	v_cmp_eq_u32_e64 s0, 3, v15
	v_cndmask_b32_e64 v2, 0, 1, vcc_lo
	v_cmp_lt_i32_e32 vcc_lo, 5, v15
	v_add_nc_u32_e32 v11, 0xfffffc10, v28
	v_and_b32_e32 v22, 0xffff, v16
	v_mul_f64 v[15:16], v[20:21], s[2:3]
	v_cmp_ne_u32_e64 s1, 0, v9
	s_or_b32 vcc_lo, s0, vcc_lo
	v_or_b32_e32 v2, v26, v2
	v_add_co_ci_u32_e32 v4, vcc_lo, 0, v4, vcc_lo
	v_lshl_or_b32 v23, v11, 12, v18
	v_cmp_gt_i32_e32 vcc_lo, 1, v11
	v_cndmask_b32_e64 v9, 0, 1, s1
	v_lshrrev_b32_e32 v25, 8, v12
	v_bfe_u32 v20, v12, 20, 11
	v_and_or_b32 v0, 0x8000, v29, v0
	v_cndmask_b32_e32 v2, v23, v2, vcc_lo
	v_cmp_ne_u32_e32 vcc_lo, 0, v7
	v_and_or_b32 v9, 0xffe, v25, v9
	v_sub_nc_u32_e32 v21, 0x3f1, v20
	v_lshl_or_b32 v22, v0, 16, v22
	v_and_b32_e32 v25, 7, v2
	v_cndmask_b32_e64 v7, 0, 1, vcc_lo
	v_cmp_gt_i32_e32 vcc_lo, 31, v24
	v_or_b32_e32 v23, 0x1000, v9
	v_med3_i32 v21, v21, 0, 13
	v_cmp_eq_u32_e64 s0, 3, v25
	v_lshrrev_b32_e32 v2, 2, v2
	v_cndmask_b32_e32 v0, 0x7c00, v4, vcc_lo
	v_cmp_lt_i32_e32 vcc_lo, 5, v25
	v_lshrrev_b32_e32 v4, v21, v23
	v_and_or_b32 v15, 0x1ff, v16, v15
	v_lshrrev_b32_e32 v25, 16, v1
	v_lshrrev_b32_e32 v27, 8, v16
	s_or_b32 vcc_lo, s0, vcc_lo
	v_lshlrev_b32_e32 v21, v21, v4
	v_add_co_ci_u32_e32 v2, vcc_lo, 0, v2, vcc_lo
	v_cmp_ne_u32_e32 vcc_lo, 0, v15
	v_mul_f16_sdwa v26, v117, v25 dst_sel:DWORD dst_unused:UNUSED_PAD src0_sel:WORD_1 src1_sel:DWORD
	v_bfe_u32 v28, v16, 20, 11
	v_lshl_or_b32 v7, v7, 9, 0x7c00
	v_cndmask_b32_e64 v15, 0, 1, vcc_lo
	v_cmp_ne_u32_e32 vcc_lo, v21, v23
	v_add_nc_u32_e32 v23, 0xfffffc10, v20
	v_fmac_f16_e32 v26, v117, v1
	v_sub_nc_u32_e32 v20, 0x3f1, v28
	v_and_or_b32 v15, 0xffe, v27, v15
	v_cndmask_b32_e64 v21, 0, 1, vcc_lo
	v_cmp_ne_u32_e32 vcc_lo, 0, v18
	v_cvt_f32_f16_e32 v26, v26
	v_med3_i32 v29, v20, 0, 13
	v_or_b32_e32 v27, 0x1000, v15
	v_or_b32_e32 v4, v4, v21
	v_cndmask_b32_e64 v18, 0, 1, vcc_lo
	v_cmp_gt_i32_e32 vcc_lo, 31, v11
	v_lshl_or_b32 v21, v23, 12, v9
	v_lshl_or_b32 v18, v18, 9, 0x7c00
	v_cndmask_b32_e32 v2, 0x7c00, v2, vcc_lo
	v_cmp_gt_i32_e32 vcc_lo, 1, v23
	v_cndmask_b32_e32 v4, v21, v4, vcc_lo
	v_cmp_eq_u32_e32 vcc_lo, 0x40f, v24
	v_cvt_f64_f32_e32 v[20:21], v26
	v_lshrrev_b32_e32 v26, v29, v27
	v_cndmask_b32_e32 v7, v0, v7, vcc_lo
	v_and_b32_e32 v0, 7, v4
	v_cmp_eq_u32_e32 vcc_lo, 0x40f, v11
	v_lshlrev_b32_e32 v24, v29, v26
	v_lshrrev_b32_e32 v11, 16, v19
	v_add_nc_u32_e32 v19, 0xfffffc10, v28
	v_cmp_eq_u32_e64 s0, 3, v0
	v_cndmask_b32_e32 v2, v2, v18, vcc_lo
	v_cmp_lt_i32_e32 vcc_lo, 5, v0
	v_lshrrev_b32_e32 v0, 2, v4
	v_cmp_ne_u32_e64 s1, v24, v27
	v_mul_f16_sdwa v18, v117, v1 dst_sel:DWORD dst_unused:UNUSED_PAD src0_sel:WORD_1 src1_sel:DWORD
	v_and_or_b32 v7, 0x8000, v17, v7
	s_or_b32 vcc_lo, s0, vcc_lo
	v_and_or_b32 v2, 0x8000, v11, v2
	v_add_co_ci_u32_e32 v24, vcc_lo, 0, v0, vcc_lo
	v_cndmask_b32_e64 v4, 0, 1, s1
	v_cmp_ne_u32_e32 vcc_lo, 0, v9
	v_fma_f16 v18, v117, v25, -v18
	v_mul_f64 v[0:1], v[20:21], s[2:3]
	v_lshl_or_b32 v20, v19, 12, v15
	v_or_b32_e32 v4, v26, v4
	v_cndmask_b32_e64 v9, 0, 1, vcc_lo
	v_cmp_gt_i32_e32 vcc_lo, 1, v19
	v_cvt_f32_f16_e32 v17, v18
	v_and_b32_e32 v7, 0xffff, v7
	s_mul_hi_u32 s1, s8, 0xffffb990
	v_lshl_or_b32 v9, v9, 9, 0x7c00
	v_cndmask_b32_e32 v4, v20, v4, vcc_lo
	v_cmp_gt_i32_e32 vcc_lo, 31, v23
	v_cvt_f64_f32_e32 v[17:18], v17
	v_lshl_or_b32 v2, v2, 16, v7
	s_sub_i32 s6, s1, s8
	v_and_b32_e32 v21, 7, v4
	v_cndmask_b32_e32 v20, 0x7c00, v24, vcc_lo
	v_add_co_u32 v13, vcc_lo, v13, s5
	v_add_co_ci_u32_e32 v14, vcc_lo, s4, v14, vcc_lo
	v_cmp_eq_u32_e32 vcc_lo, 0x40f, v23
	v_cmp_eq_u32_e64 s0, 3, v21
	v_lshrrev_b32_e32 v4, 2, v4
	v_and_or_b32 v0, 0x1ff, v1, v0
	v_cndmask_b32_e32 v9, v20, v9, vcc_lo
	v_cmp_lt_i32_e32 vcc_lo, 5, v21
	v_lshrrev_b32_e32 v20, 16, v12
	v_bfe_u32 v21, v1, 20, 11
	s_or_b32 vcc_lo, s0, vcc_lo
	v_and_or_b32 v9, 0x8000, v20, v9
	v_add_co_ci_u32_e32 v4, vcc_lo, 0, v4, vcc_lo
	v_cmp_ne_u32_e32 vcc_lo, 0, v15
	v_mul_f64 v[11:12], v[17:18], s[2:3]
	v_lshrrev_b32_e32 v15, 8, v1
	v_lshrrev_b32_e32 v17, 16, v6
	v_and_b32_e32 v9, 0xffff, v9
	v_cndmask_b32_e64 v7, 0, 1, vcc_lo
	v_cmp_ne_u32_e32 vcc_lo, 0, v0
	s_mul_i32 s0, s9, 0xffffb990
	v_mul_f16_sdwa v23, v115, v17 dst_sel:DWORD dst_unused:UNUSED_PAD src0_sel:WORD_1 src1_sel:DWORD
	s_add_i32 s6, s6, s0
	v_lshl_or_b32 v7, v7, 9, 0x7c00
	v_cndmask_b32_e64 v0, 0, 1, vcc_lo
	v_cmp_gt_i32_e32 vcc_lo, 31, v19
	v_fmac_f16_e32 v23, v115, v6
	v_mul_f16_sdwa v6, v115, v6 dst_sel:DWORD dst_unused:UNUSED_PAD src0_sel:WORD_1 src1_sel:DWORD
	v_lshrrev_b32_e32 v1, 16, v1
	v_and_or_b32 v0, 0xffe, v15, v0
	v_sub_nc_u32_e32 v15, 0x3f1, v21
	v_cndmask_b32_e32 v4, 0x7c00, v4, vcc_lo
	v_cmp_eq_u32_e32 vcc_lo, 0x40f, v19
	v_fma_f16 v6, v115, v17, -v6
	v_or_b32_e32 v18, 0x1000, v0
	v_med3_i32 v20, v15, 0, 13
	v_and_or_b32 v11, 0x1ff, v12, v11
	v_cndmask_b32_e32 v4, v4, v7, vcc_lo
	v_lshrrev_b32_e32 v7, 16, v16
	v_add_co_u32 v15, vcc_lo, v13, s5
	v_lshrrev_b32_e32 v19, v20, v18
	v_add_co_ci_u32_e32 v16, vcc_lo, s4, v14, vcc_lo
	v_and_or_b32 v4, 0x8000, v7, v4
	v_cmp_ne_u32_e32 vcc_lo, 0, v11
	v_lshlrev_b32_e32 v7, v20, v19
	v_cvt_f32_f16_e32 v20, v23
	global_store_dword v[13:14], v22, off
	global_store_dword v[15:16], v2, off
	v_lshl_or_b32 v2, v4, 16, v9
	v_cndmask_b32_e64 v4, 0, 1, vcc_lo
	v_cmp_ne_u32_e32 vcc_lo, v7, v18
	v_cvt_f64_f32_e32 v[13:14], v20
	v_lshrrev_b32_e32 v9, 8, v12
	v_bfe_u32 v11, v12, 20, 11
	v_add_nc_u32_e32 v18, 0xfffffc10, v21
	v_cndmask_b32_e64 v7, 0, 1, vcc_lo
	v_cvt_f32_f16_e32 v21, v6
	v_and_or_b32 v4, 0xffe, v9, v4
	v_sub_nc_u32_e32 v9, 0x3f1, v11
	v_cmp_gt_i32_e32 vcc_lo, 1, v18
	v_or_b32_e32 v7, v19, v7
	v_lshl_or_b32 v19, v18, 12, v0
	v_or_b32_e32 v20, 0x1000, v4
	v_med3_i32 v9, v9, 0, 13
	v_add_nc_u32_e32 v11, 0xfffffc10, v11
	v_cndmask_b32_e32 v17, v19, v7, vcc_lo
	v_lshrrev_b32_e32 v19, v9, v20
	v_and_b32_e32 v22, 7, v17
	v_lshrrev_b32_e32 v17, 2, v17
	v_mul_f64 v[6:7], v[13:14], s[2:3]
	v_lshlrev_b32_e32 v9, v9, v19
	v_cvt_f64_f32_e32 v[13:14], v21
	v_cmp_lt_i32_e32 vcc_lo, 5, v22
	v_cmp_eq_u32_e64 s0, 3, v22
	v_cmp_ne_u32_e64 s1, v9, v20
	v_lshrrev_b32_e32 v20, 16, v3
	s_or_b32 vcc_lo, s0, vcc_lo
	v_add_co_ci_u32_e32 v17, vcc_lo, 0, v17, vcc_lo
	v_cndmask_b32_e64 v9, 0, 1, s1
	v_cmp_ne_u32_e32 vcc_lo, 0, v0
	v_mul_f16_sdwa v23, v113, v20 dst_sel:DWORD dst_unused:UNUSED_PAD src0_sel:WORD_1 src1_sel:DWORD
	v_add_co_u32 v15, s1, v15, s7
	v_or_b32_e32 v9, v19, v9
	v_lshl_or_b32 v19, v11, 12, v4
	v_cndmask_b32_e64 v0, 0, 1, vcc_lo
	v_cmp_gt_i32_e32 vcc_lo, 1, v11
	v_and_or_b32 v6, 0x1ff, v7, v6
	v_bfe_u32 v22, v7, 20, 11
	v_mul_f64 v[13:14], v[13:14], s[2:3]
	v_lshl_or_b32 v0, v0, 9, 0x7c00
	v_cndmask_b32_e32 v9, v19, v9, vcc_lo
	v_cmp_gt_i32_e32 vcc_lo, 31, v18
	v_lshrrev_b32_e32 v21, 8, v7
	v_fmac_f16_e32 v23, v113, v3
	v_mul_f16_sdwa v3, v113, v3 dst_sel:DWORD dst_unused:UNUSED_PAD src0_sel:WORD_1 src1_sel:DWORD
	v_and_b32_e32 v19, 7, v9
	v_cndmask_b32_e32 v17, 0x7c00, v17, vcc_lo
	v_cmp_ne_u32_e32 vcc_lo, 0, v6
	v_lshrrev_b32_e32 v9, 2, v9
	v_add_co_ci_u32_e64 v16, s1, s6, v16, s1
	v_cmp_eq_u32_e64 s0, 3, v19
	v_cndmask_b32_e64 v6, 0, 1, vcc_lo
	v_cmp_eq_u32_e32 vcc_lo, 0x40f, v18
	v_fma_f16 v3, v113, v20, -v3
	global_store_dword v[15:16], v2, off
	v_lshrrev_b32_e32 v7, 16, v7
	v_and_or_b32 v6, 0xffe, v21, v6
	v_cndmask_b32_e32 v0, v17, v0, vcc_lo
	v_cmp_lt_i32_e32 vcc_lo, 5, v19
	v_sub_nc_u32_e32 v17, 0x3f1, v22
	v_and_or_b32 v13, 0x1ff, v14, v13
	v_or_b32_e32 v19, 0x1000, v6
	v_lshrrev_b32_e32 v24, 8, v14
	s_or_b32 vcc_lo, s0, vcc_lo
	v_med3_i32 v21, v17, 0, 13
	v_add_co_ci_u32_e32 v9, vcc_lo, 0, v9, vcc_lo
	v_cmp_ne_u32_e32 vcc_lo, 0, v4
	v_cvt_f32_f16_e32 v17, v23
	v_lshrrev_b32_e32 v23, v21, v19
	v_bfe_u32 v25, v14, 20, 11
	v_and_or_b32 v26, 0x8000, v1, v0
	v_cndmask_b32_e64 v4, 0, 1, vcc_lo
	v_cmp_gt_i32_e32 vcc_lo, 31, v11
	v_cvt_f64_f32_e32 v[17:18], v17
	v_lshlrev_b32_e32 v21, v21, v23
	v_sub_nc_u32_e32 v0, 0x3f1, v25
	v_lshl_or_b32 v4, v4, 9, 0x7c00
	v_cndmask_b32_e32 v9, 0x7c00, v9, vcc_lo
	v_cmp_ne_u32_e32 vcc_lo, 0, v13
	v_cvt_f32_f16_e32 v2, v3
	v_lshrrev_b32_e32 v14, 16, v14
	v_cndmask_b32_e64 v13, 0, 1, vcc_lo
	v_cmp_eq_u32_e32 vcc_lo, 0x40f, v11
	v_cvt_f64_f32_e32 v[2:3], v2
	v_and_or_b32 v13, 0xffe, v24, v13
	v_cndmask_b32_e32 v4, v9, v4, vcc_lo
	v_lshrrev_b32_e32 v9, 16, v12
	v_med3_i32 v12, v0, 0, 13
	v_cmp_ne_u32_e32 vcc_lo, v21, v19
	v_or_b32_e32 v11, 0x1000, v13
	v_add_nc_u32_e32 v21, 0xfffffc10, v22
	v_and_or_b32 v4, 0x8000, v9, v4
	v_mul_f64 v[0:1], v[17:18], s[2:3]
	v_cndmask_b32_e64 v19, 0, 1, vcc_lo
	v_lshrrev_b32_e32 v9, v12, v11
	v_and_b32_e32 v17, 0xffff, v26
	v_cmp_gt_i32_e32 vcc_lo, 1, v21
	v_or_b32_e32 v18, v23, v19
	v_lshl_or_b32 v19, v21, 12, v6
	v_lshlrev_b32_e32 v12, v12, v9
	v_lshl_or_b32 v4, v4, 16, v17
	v_mul_f64 v[2:3], v[2:3], s[2:3]
	v_cndmask_b32_e32 v17, v19, v18, vcc_lo
	v_cmp_ne_u32_e32 vcc_lo, v12, v11
	v_add_nc_u32_e32 v19, 0xfffffc10, v25
	v_and_b32_e32 v20, 7, v17
	v_cndmask_b32_e64 v18, 0, 1, vcc_lo
	v_add_co_u32 v11, vcc_lo, v15, s5
	v_lshl_or_b32 v15, v19, 12, v13
	v_cmp_gt_i32_e64 s1, 1, v19
	v_or_b32_e32 v9, v9, v18
	v_add_co_ci_u32_e32 v12, vcc_lo, s4, v16, vcc_lo
	v_cmp_lt_i32_e32 vcc_lo, 5, v20
	v_cmp_eq_u32_e64 s0, 3, v20
	v_and_or_b32 v0, 0x1ff, v1, v0
	v_lshrrev_b32_e32 v16, 2, v17
	v_cndmask_b32_e64 v9, v15, v9, s1
	v_lshrrev_b32_e32 v15, 8, v1
	s_or_b32 vcc_lo, s0, vcc_lo
	v_cmp_ne_u32_e64 s1, 0, v0
	v_add_co_ci_u32_e32 v16, vcc_lo, 0, v16, vcc_lo
	v_and_b32_e32 v18, 7, v9
	v_cmp_ne_u32_e32 vcc_lo, 0, v6
	v_cndmask_b32_e64 v0, 0, 1, s1
	v_bfe_u32 v17, v1, 20, 11
	v_lshrrev_b32_e32 v9, 2, v9
	v_cmp_eq_u32_e64 s0, 3, v18
	v_cndmask_b32_e64 v6, 0, 1, vcc_lo
	v_cmp_lt_i32_e32 vcc_lo, 5, v18
	v_and_or_b32 v0, 0xffe, v15, v0
	v_sub_nc_u32_e32 v15, 0x3f1, v17
	v_cmp_gt_i32_e64 s1, 31, v21
	v_lshl_or_b32 v6, v6, 9, 0x7c00
	s_or_b32 vcc_lo, s0, vcc_lo
	v_or_b32_e32 v20, 0x1000, v0
	v_add_co_ci_u32_e32 v9, vcc_lo, 0, v9, vcc_lo
	v_med3_i32 v15, v15, 0, 13
	v_cndmask_b32_e64 v16, 0x7c00, v16, s1
	v_cmp_eq_u32_e32 vcc_lo, 0x40f, v21
	v_lshrrev_b32_e32 v18, 16, v8
	v_and_or_b32 v2, 0x1ff, v3, v2
	v_lshrrev_b32_e32 v22, v15, v20
	v_add_nc_u32_e32 v17, 0xfffffc10, v17
	v_cndmask_b32_e32 v6, v16, v6, vcc_lo
	v_cmp_gt_i32_e32 vcc_lo, 31, v19
	v_mul_f16_sdwa v23, v111, v18 dst_sel:DWORD dst_unused:UNUSED_PAD src0_sel:WORD_1 src1_sel:DWORD
	v_lshlrev_b32_e32 v15, v15, v22
	v_lshrrev_b32_e32 v21, 8, v3
	global_store_dword v[11:12], v4, off
	v_cndmask_b32_e32 v9, 0x7c00, v9, vcc_lo
	v_cmp_ne_u32_e32 vcc_lo, 0, v13
	v_fmac_f16_e32 v23, v111, v8
	v_mul_f16_sdwa v8, v111, v8 dst_sel:DWORD dst_unused:UNUSED_PAD src0_sel:WORD_1 src1_sel:DWORD
	v_cndmask_b32_e64 v13, 0, 1, vcc_lo
	v_cmp_ne_u32_e32 vcc_lo, v15, v20
	v_cvt_f32_f16_e32 v16, v23
	v_bfe_u32 v23, v3, 20, 11
	v_fma_f16 v8, v111, v18, -v8
	v_lshl_or_b32 v13, v13, 9, 0x7c00
	v_cndmask_b32_e64 v20, 0, 1, vcc_lo
	v_cmp_ne_u32_e32 vcc_lo, 0, v2
	v_cvt_f64_f32_e32 v[15:16], v16
	v_cvt_f32_f16_e32 v8, v8
	v_or_b32_e32 v20, v22, v20
	v_cndmask_b32_e64 v2, 0, 1, vcc_lo
	v_lshl_or_b32 v22, v17, 12, v0
	v_cmp_gt_i32_e32 vcc_lo, 1, v17
	v_and_or_b32 v2, 0xffe, v21, v2
	v_sub_nc_u32_e32 v21, 0x3f1, v23
	v_cndmask_b32_e32 v20, v22, v20, vcc_lo
	v_cmp_eq_u32_e32 vcc_lo, 0x40f, v19
	v_and_or_b32 v19, 0x8000, v7, v6
	v_or_b32_e32 v22, 0x1000, v2
	v_med3_i32 v21, v21, 0, 13
	v_cndmask_b32_e32 v13, v9, v13, vcc_lo
	v_and_b32_e32 v9, 7, v20
	v_and_b32_e32 v19, 0xffff, v19
	v_lshrrev_b32_e32 v18, v21, v22
	v_mul_f64 v[6:7], v[15:16], s[2:3]
	v_cmp_lt_i32_e32 vcc_lo, 5, v9
	v_cmp_eq_u32_e64 s0, 3, v9
	v_lshrrev_b32_e32 v15, 2, v20
	v_lshlrev_b32_e32 v16, v21, v18
	v_cvt_f64_f32_e32 v[8:9], v8
	v_and_or_b32 v13, 0x8000, v14, v13
	s_or_b32 vcc_lo, s0, vcc_lo
	v_add_co_ci_u32_e32 v14, vcc_lo, 0, v15, vcc_lo
	v_cmp_ne_u32_e32 vcc_lo, v16, v22
	v_add_nc_u32_e32 v16, 0xfffffc10, v23
	v_lshl_or_b32 v13, v13, 16, v19
	v_cndmask_b32_e64 v15, 0, 1, vcc_lo
	v_cmp_ne_u32_e32 vcc_lo, 0, v0
	v_or_b32_e32 v15, v18, v15
	v_cndmask_b32_e64 v0, 0, 1, vcc_lo
	v_cmp_gt_i32_e32 vcc_lo, 31, v17
	v_lshl_or_b32 v18, v16, 12, v2
	v_and_or_b32 v4, 0x1ff, v7, v6
	v_mul_f64 v[8:9], v[8:9], s[2:3]
	v_cndmask_b32_e32 v14, 0x7c00, v14, vcc_lo
	v_cmp_gt_i32_e32 vcc_lo, 1, v16
	v_lshl_or_b32 v0, v0, 9, 0x7c00
	v_cndmask_b32_e32 v6, v18, v15, vcc_lo
	v_cmp_ne_u32_e32 vcc_lo, 0, v4
	v_lshrrev_b32_e32 v15, 8, v7
	v_bfe_u32 v18, v7, 20, 11
	v_cndmask_b32_e64 v4, 0, 1, vcc_lo
	v_cmp_eq_u32_e32 vcc_lo, 0x40f, v17
	v_lshrrev_b32_e32 v17, 16, v1
	v_sub_nc_u32_e32 v1, 0x3f1, v18
	v_add_nc_u32_e32 v18, 0xfffffc10, v18
	v_and_or_b32 v15, 0xffe, v15, v4
	v_cndmask_b32_e32 v14, v14, v0, vcc_lo
	v_and_b32_e32 v0, 7, v6
	v_lshrrev_b32_e32 v4, 16, v5
	v_lshrrev_b32_e32 v6, 2, v6
	v_or_b32_e32 v19, 0x1000, v15
	v_med3_i32 v20, v1, 0, 13
	v_cmp_lt_i32_e32 vcc_lo, 5, v0
	v_cmp_eq_u32_e64 s0, 3, v0
	v_mul_f16_sdwa v21, v108, v4 dst_sel:DWORD dst_unused:UNUSED_PAD src0_sel:WORD_1 src1_sel:DWORD
	v_and_or_b32 v8, 0x1ff, v9, v8
	v_lshrrev_b32_e32 v22, v20, v19
	v_add_co_u32 v0, s1, v11, s5
	s_or_b32 vcc_lo, s0, vcc_lo
	v_fmac_f16_e32 v21, v108, v5
	v_add_co_ci_u32_e32 v6, vcc_lo, 0, v6, vcc_lo
	v_cmp_ne_u32_e32 vcc_lo, 0, v2
	v_lshlrev_b32_e32 v20, v20, v22
	v_cvt_f32_f16_e32 v11, v21
	v_add_co_ci_u32_e64 v1, s1, s4, v12, s1
	v_cndmask_b32_e64 v2, 0, 1, vcc_lo
	v_cmp_ne_u32_e32 vcc_lo, 0, v8
	v_cvt_f64_f32_e32 v[11:12], v11
	v_lshrrev_b32_e32 v21, 8, v9
	v_bfe_u32 v23, v9, 20, 11
	v_mul_f16_sdwa v5, v108, v5 dst_sel:DWORD dst_unused:UNUSED_PAD src0_sel:WORD_1 src1_sel:DWORD
	v_cndmask_b32_e64 v8, 0, 1, vcc_lo
	v_cmp_ne_u32_e32 vcc_lo, v20, v19
	v_lshl_or_b32 v2, v2, 9, 0x7c00
	v_sub_nc_u32_e32 v20, 0x3f1, v23
	v_fma_f16 v4, v108, v4, -v5
	v_and_or_b32 v8, 0xffe, v21, v8
	v_cndmask_b32_e64 v19, 0, 1, vcc_lo
	v_cmp_gt_i32_e32 vcc_lo, 31, v16
	v_lshl_or_b32 v21, v18, 12, v15
	v_med3_i32 v20, v20, 0, 13
	v_cvt_f32_f16_e32 v4, v4
	v_or_b32_e32 v19, v22, v19
	v_cndmask_b32_e32 v6, 0x7c00, v6, vcc_lo
	v_cmp_gt_i32_e32 vcc_lo, 1, v18
	v_or_b32_e32 v22, 0x1000, v8
	global_store_dword v[0:1], v13, off
	v_lshrrev_b32_e32 v9, 16, v9
	v_cndmask_b32_e32 v19, v21, v19, vcc_lo
	v_cmp_eq_u32_e32 vcc_lo, 0x40f, v16
	v_lshrrev_b32_e32 v21, v20, v22
	v_and_b32_e32 v16, 7, v19
	v_cndmask_b32_e32 v5, v6, v2, vcc_lo
	v_lshrrev_b32_e32 v6, 16, v3
	v_mul_f64 v[2:3], v[11:12], s[2:3]
	v_and_or_b32 v11, 0x8000, v17, v14
	v_cmp_lt_i32_e32 vcc_lo, 5, v16
	v_cmp_eq_u32_e64 s0, 3, v16
	v_and_or_b32 v6, 0x8000, v6, v5
	v_cvt_f64_f32_e32 v[4:5], v4
	v_lshrrev_b32_e32 v14, 2, v19
	v_lshlrev_b32_e32 v12, v20, v21
	s_or_b32 vcc_lo, s0, vcc_lo
	v_add_nc_u32_e32 v16, 0xfffffc10, v23
	v_and_b32_e32 v11, 0xffff, v11
	v_add_co_ci_u32_e32 v14, vcc_lo, 0, v14, vcc_lo
	v_cmp_ne_u32_e64 s1, v12, v22
	v_cmp_ne_u32_e32 vcc_lo, 0, v15
	v_lshl_or_b32 v15, v16, 12, v8
	v_lshl_or_b32 v11, v6, 16, v11
	v_lshrrev_b32_e32 v17, 16, v10
	v_cndmask_b32_e64 v12, 0, 1, s1
	v_cndmask_b32_e64 v13, 0, 1, vcc_lo
	v_cmp_gt_i32_e32 vcc_lo, 31, v18
	v_and_or_b32 v2, 0x1ff, v3, v2
	v_or_b32_e32 v12, v21, v12
	v_lshl_or_b32 v13, v13, 9, 0x7c00
	v_cndmask_b32_e32 v14, 0x7c00, v14, vcc_lo
	v_cmp_gt_i32_e32 vcc_lo, 1, v16
	v_mul_f64 v[4:5], v[4:5], s[2:3]
	v_mul_f16_sdwa v19, v106, v17 dst_sel:DWORD dst_unused:UNUSED_PAD src0_sel:WORD_1 src1_sel:DWORD
	v_cndmask_b32_e32 v6, v15, v12, vcc_lo
	v_cmp_ne_u32_e32 vcc_lo, 0, v2
	v_lshrrev_b32_e32 v12, 8, v3
	v_bfe_u32 v15, v3, 20, 11
	v_fmac_f16_e32 v19, v106, v10
	v_mul_f16_sdwa v10, v106, v10 dst_sel:DWORD dst_unused:UNUSED_PAD src0_sel:WORD_1 src1_sel:DWORD
	v_cndmask_b32_e64 v2, 0, 1, vcc_lo
	v_cmp_eq_u32_e32 vcc_lo, 0x40f, v18
	v_lshrrev_b32_e32 v3, 16, v3
	v_fma_f16 v10, v106, v17, -v10
	v_and_or_b32 v12, 0xffe, v12, v2
	v_cndmask_b32_e32 v13, v14, v13, vcc_lo
	v_lshrrev_b32_e32 v14, 16, v7
	v_and_b32_e32 v7, 7, v6
	v_add_co_u32 v0, vcc_lo, v0, s5
	v_add_co_ci_u32_e32 v1, vcc_lo, s4, v1, vcc_lo
	v_cmp_lt_i32_e32 vcc_lo, 5, v7
	v_cmp_eq_u32_e64 s0, 3, v7
	v_lshrrev_b32_e32 v6, 2, v6
	v_sub_nc_u32_e32 v2, 0x3f1, v15
	v_and_or_b32 v4, 0x1ff, v5, v4
	v_or_b32_e32 v18, 0x1000, v12
	s_or_b32 vcc_lo, s0, vcc_lo
	v_bfe_u32 v22, v5, 20, 11
	v_add_co_ci_u32_e32 v21, vcc_lo, 0, v6, vcc_lo
	v_cmp_ne_u32_e32 vcc_lo, 0, v8
	v_cvt_f32_f16_e32 v6, v19
	v_med3_i32 v2, v2, 0, 13
	v_lshrrev_b32_e32 v19, 8, v5
	v_add_nc_u32_e32 v15, 0xfffffc10, v15
	v_cndmask_b32_e64 v8, 0, 1, vcc_lo
	v_cmp_ne_u32_e32 vcc_lo, 0, v4
	v_cvt_f64_f32_e32 v[6:7], v6
	v_lshrrev_b32_e32 v20, v2, v18
	v_and_or_b32 v13, 0x8000, v14, v13
	v_lshl_or_b32 v8, v8, 9, 0x7c00
	v_cndmask_b32_e64 v4, 0, 1, vcc_lo
	v_cmp_gt_i32_e32 vcc_lo, 31, v16
	v_lshlrev_b32_e32 v2, v2, v20
	v_cvt_f32_f16_e32 v10, v10
	global_store_dword v[0:1], v11, off
	v_and_or_b32 v4, 0xffe, v19, v4
	v_sub_nc_u32_e32 v19, 0x3f1, v22
	v_cndmask_b32_e32 v21, 0x7c00, v21, vcc_lo
	v_cmp_ne_u32_e32 vcc_lo, v2, v18
	v_and_b32_e32 v13, 0xffff, v13
	v_or_b32_e32 v18, 0x1000, v4
	v_med3_i32 v19, v19, 0, 13
	v_cndmask_b32_e64 v2, 0, 1, vcc_lo
	v_cmp_eq_u32_e32 vcc_lo, 0x40f, v16
	v_lshrrev_b32_e32 v16, v19, v18
	v_or_b32_e32 v2, v20, v2
	v_cndmask_b32_e32 v8, v21, v8, vcc_lo
	v_lshl_or_b32 v20, v15, 12, v12
	v_cmp_gt_i32_e32 vcc_lo, 1, v15
	v_mul_f64 v[6:7], v[6:7], s[2:3]
	v_lshlrev_b32_e32 v14, v19, v16
	v_and_or_b32 v17, 0x8000, v9, v8
	v_cvt_f64_f32_e32 v[8:9], v10
	v_cndmask_b32_e32 v2, v20, v2, vcc_lo
	v_cmp_ne_u32_e32 vcc_lo, v14, v18
	v_lshl_or_b32 v17, v17, 16, v13
	v_add_nc_u32_e32 v14, 0xfffffc10, v22
	v_and_b32_e32 v11, 7, v2
	v_cndmask_b32_e64 v10, 0, 1, vcc_lo
	v_cmp_lt_i32_e32 vcc_lo, 5, v11
	v_cmp_eq_u32_e64 s0, 3, v11
	v_or_b32_e32 v13, v16, v10
	v_add_co_u32 v10, s1, v0, s5
	v_lshrrev_b32_e32 v0, 2, v2
	s_or_b32 vcc_lo, s0, vcc_lo
	v_add_co_ci_u32_e64 v11, s1, s4, v1, s1
	ds_read2_b32 v[1:2], v114 offset0:8 offset1:204
	v_add_co_ci_u32_e32 v0, vcc_lo, 0, v0, vcc_lo
	v_lshl_or_b32 v16, v14, 12, v4
	v_cmp_gt_i32_e64 s1, 1, v14
	v_and_or_b32 v6, 0x1ff, v7, v6
	v_cmp_ne_u32_e32 vcc_lo, 0, v12
	v_mul_f64 v[8:9], v[8:9], s[2:3]
	v_lshrrev_b32_e32 v18, 8, v7
	v_cndmask_b32_e64 v13, v16, v13, s1
	v_bfe_u32 v19, v7, 20, 11
	v_cndmask_b32_e64 v12, 0, 1, vcc_lo
	v_cmp_ne_u32_e32 vcc_lo, 0, v6
	global_store_dword v[10:11], v17, off
	v_and_b32_e32 v16, 7, v13
	v_lshl_or_b32 v20, v12, 9, 0x7c00
	v_cndmask_b32_e64 v6, 0, 1, vcc_lo
	v_cmp_gt_i32_e32 vcc_lo, 31, v15
	v_cmp_eq_u32_e64 s0, 3, v16
	v_lshrrev_b32_e32 v12, 2, v13
	s_waitcnt lgkmcnt(0)
	v_lshrrev_b32_e32 v21, 16, v1
	v_and_or_b32 v18, 0xffe, v18, v6
	v_cndmask_b32_e32 v0, 0x7c00, v0, vcc_lo
	v_cmp_lt_i32_e32 vcc_lo, 5, v16
	v_sub_nc_u32_e32 v6, 0x3f1, v19
	v_mul_f16_sdwa v16, v102, v21 dst_sel:DWORD dst_unused:UNUSED_PAD src0_sel:WORD_1 src1_sel:DWORD
	v_or_b32_e32 v13, 0x1000, v18
	v_add_nc_u32_e32 v19, 0xfffffc10, v19
	s_or_b32 vcc_lo, s0, vcc_lo
	v_med3_i32 v6, v6, 0, 13
	v_add_co_ci_u32_e32 v12, vcc_lo, 0, v12, vcc_lo
	v_cmp_ne_u32_e32 vcc_lo, 0, v4
	v_and_or_b32 v8, 0x1ff, v9, v8
	v_lshrrev_b32_e32 v22, v6, v13
	v_fmac_f16_e32 v16, v102, v1
	v_bfe_u32 v24, v9, 20, 11
	v_cndmask_b32_e64 v4, 0, 1, vcc_lo
	v_cmp_gt_i32_e32 vcc_lo, 31, v14
	v_lshlrev_b32_e32 v6, v6, v22
	v_mul_f16_sdwa v1, v102, v1 dst_sel:DWORD dst_unused:UNUSED_PAD src0_sel:WORD_1 src1_sel:DWORD
	v_lshl_or_b32 v4, v4, 9, 0x7c00
	v_cndmask_b32_e32 v23, 0x7c00, v12, vcc_lo
	v_cvt_f32_f16_e32 v12, v16
	v_cmp_ne_u32_e32 vcc_lo, 0, v8
	v_lshrrev_b32_e32 v16, 8, v9
	v_fma_f16 v1, v102, v21, -v1
	v_lshrrev_b32_e32 v9, 16, v9
	v_cndmask_b32_e64 v8, 0, 1, vcc_lo
	v_cmp_ne_u32_e32 vcc_lo, v6, v13
	v_cvt_f64_f32_e32 v[12:13], v12
	v_cvt_f32_f16_e32 v1, v1
	v_and_or_b32 v8, 0xffe, v16, v8
	v_cndmask_b32_e64 v6, 0, 1, vcc_lo
	v_sub_nc_u32_e32 v16, 0x3f1, v24
	v_cmp_eq_u32_e32 vcc_lo, 0x40f, v15
	v_or_b32_e32 v25, 0x1000, v8
	v_or_b32_e32 v6, v22, v6
	v_med3_i32 v16, v16, 0, 13
	v_cndmask_b32_e32 v0, v0, v20, vcc_lo
	v_cmp_eq_u32_e32 vcc_lo, 0x40f, v14
	v_lshl_or_b32 v22, v19, 12, v18
	v_lshrrev_b32_e32 v20, 16, v5
	v_lshrrev_b32_e32 v15, v16, v25
	v_cndmask_b32_e32 v4, v23, v4, vcc_lo
	v_cmp_gt_i32_e32 vcc_lo, 1, v19
	v_cndmask_b32_e32 v14, v22, v6, vcc_lo
	v_mul_f64 v[5:6], v[12:13], s[2:3]
	v_lshlrev_b32_e32 v12, v16, v15
	v_and_or_b32 v13, 0x8000, v3, v0
	v_and_or_b32 v16, 0x8000, v20, v4
	v_and_b32_e32 v17, 7, v14
	v_lshrrev_b32_e32 v14, 2, v14
	v_cmp_ne_u32_e64 s0, v12, v25
	v_cvt_f64_f32_e32 v[3:4], v1
	ds_read2_b32 v[0:1], v112 offset0:24 offset1:220
	v_cmp_lt_i32_e32 vcc_lo, 5, v17
	v_add_nc_u32_e32 v20, 0xfffffc10, v24
	v_cndmask_b32_e64 v12, 0, 1, s0
	v_cmp_eq_u32_e64 s0, 3, v17
	v_and_b32_e32 v13, 0xffff, v13
	v_or_b32_e32 v12, v15, v12
	s_or_b32 vcc_lo, s0, vcc_lo
	v_lshl_or_b32 v15, v20, 12, v8
	v_add_co_ci_u32_e32 v14, vcc_lo, 0, v14, vcc_lo
	v_cmp_ne_u32_e32 vcc_lo, 0, v18
	v_and_or_b32 v5, 0x1ff, v6, v5
	v_lshl_or_b32 v16, v16, 16, v13
	v_cndmask_b32_e64 v17, 0, 1, vcc_lo
	v_cmp_gt_i32_e32 vcc_lo, 1, v20
	s_waitcnt lgkmcnt(0)
	v_lshrrev_b32_e32 v21, 16, v0
	v_lshl_or_b32 v17, v17, 9, 0x7c00
	v_cndmask_b32_e32 v15, v15, v12, vcc_lo
	v_cmp_gt_i32_e32 vcc_lo, 31, v19
	v_mul_f64 v[12:13], v[3:4], s[2:3]
	v_mul_f16_sdwa v22, v103, v21 dst_sel:DWORD dst_unused:UNUSED_PAD src0_sel:WORD_1 src1_sel:DWORD
	v_lshrrev_b32_e32 v4, 8, v6
	v_and_b32_e32 v18, 7, v15
	v_cndmask_b32_e32 v14, 0x7c00, v14, vcc_lo
	v_cmp_ne_u32_e32 vcc_lo, 0, v5
	v_bfe_u32 v5, v6, 20, 11
	v_fmac_f16_e32 v22, v103, v0
	v_cmp_eq_u32_e64 s0, 3, v18
	v_lshrrev_b32_e32 v15, 2, v15
	v_cndmask_b32_e64 v3, 0, 1, vcc_lo
	v_add_co_u32 v10, vcc_lo, v10, s5
	v_add_co_ci_u32_e32 v11, vcc_lo, s4, v11, vcc_lo
	v_cmp_eq_u32_e32 vcc_lo, 0x40f, v19
	v_and_or_b32 v23, 0xffe, v4, v3
	v_sub_nc_u32_e32 v3, 0x3f1, v5
	v_cvt_f32_f16_e32 v4, v22
	v_lshrrev_b32_e32 v22, 16, v7
	v_cndmask_b32_e32 v14, v14, v17, vcc_lo
	v_cmp_lt_i32_e32 vcc_lo, 5, v18
	v_med3_i32 v19, v3, 0, 13
	v_cvt_f64_f32_e32 v[3:4], v4
	v_or_b32_e32 v17, 0x1000, v23
	v_and_or_b32 v12, 0x1ff, v13, v12
	s_or_b32 vcc_lo, s0, vcc_lo
	v_bfe_u32 v24, v13, 20, 11
	v_add_co_ci_u32_e32 v15, vcc_lo, 0, v15, vcc_lo
	v_cmp_ne_u32_e32 vcc_lo, 0, v8
	v_lshrrev_b32_e32 v18, v19, v17
	v_add_nc_u32_e32 v25, 0xfffffc10, v5
	v_sub_nc_u32_e32 v5, 0x3f1, v24
	v_mul_f16_sdwa v0, v103, v0 dst_sel:DWORD dst_unused:UNUSED_PAD src0_sel:WORD_1 src1_sel:DWORD
	v_cndmask_b32_e64 v8, 0, 1, vcc_lo
	v_cmp_gt_i32_e32 vcc_lo, 31, v20
	v_lshlrev_b32_e32 v19, v19, v18
	v_med3_i32 v5, v5, 0, 13
	v_fma_f16 v0, v103, v21, -v0
	v_and_or_b32 v14, 0x8000, v22, v14
	v_cndmask_b32_e32 v15, 0x7c00, v15, vcc_lo
	v_cmp_ne_u32_e32 vcc_lo, 0, v12
	v_lshrrev_b32_e32 v12, 8, v13
	v_cvt_f32_f16_e32 v0, v0
	global_store_dword v[10:11], v16, off
	v_lshrrev_b32_e32 v13, 16, v13
	v_cndmask_b32_e64 v7, 0, 1, vcc_lo
	v_cmp_ne_u32_e32 vcc_lo, v19, v17
	v_lshl_or_b32 v19, v8, 9, 0x7c00
	v_and_or_b32 v12, 0xffe, v12, v7
	v_cndmask_b32_e64 v17, 0, 1, vcc_lo
	v_cmp_eq_u32_e32 vcc_lo, 0x40f, v20
	v_mul_f64 v[7:8], v[3:4], s[2:3]
	v_lshl_or_b32 v3, v25, 12, v23
	v_or_b32_e32 v4, 0x1000, v12
	v_or_b32_e32 v17, v18, v17
	v_cndmask_b32_e32 v15, v15, v19, vcc_lo
	v_cmp_gt_i32_e32 vcc_lo, 1, v25
	v_and_b32_e32 v19, 0xffff, v14
	v_and_or_b32 v9, 0x8000, v9, v15
	v_cndmask_b32_e32 v3, v3, v17, vcc_lo
	v_lshrrev_b32_e32 v17, v5, v4
	v_cvt_f64_f32_e32 v[14:15], v0
	v_lshl_or_b32 v19, v9, 16, v19
	v_and_b32_e32 v18, 7, v3
	v_lshlrev_b32_e32 v5, v5, v17
	v_lshrrev_b32_e32 v3, 2, v3
	v_cmp_lt_i32_e32 vcc_lo, 5, v18
	v_cmp_eq_u32_e64 s0, 3, v18
	v_and_or_b32 v0, 0x1ff, v8, v7
	v_cmp_ne_u32_e64 s1, v5, v4
	v_add_nc_u32_e32 v7, 0xfffffc10, v24
	v_lshrrev_b32_e32 v16, 8, v8
	s_or_b32 vcc_lo, s0, vcc_lo
	v_add_co_ci_u32_e32 v3, vcc_lo, 0, v3, vcc_lo
	v_cndmask_b32_e64 v4, 0, 1, s1
	v_cmp_ne_u32_e32 vcc_lo, 0, v0
	v_lshl_or_b32 v5, v7, 12, v12
	v_cmp_eq_u32_e64 s1, 0x40f, v25
	v_mul_f64 v[14:15], v[14:15], s[2:3]
	v_or_b32_e32 v4, v17, v4
	v_cndmask_b32_e64 v0, 0, 1, vcc_lo
	v_cmp_gt_i32_e32 vcc_lo, 1, v7
	v_bfe_u32 v17, v8, 20, 11
	v_and_or_b32 v0, 0xffe, v16, v0
	v_cndmask_b32_e32 v18, v5, v4, vcc_lo
	ds_read2_b32 v[4:5], v110 offset0:40 offset1:236
	v_cmp_ne_u32_e32 vcc_lo, 0, v23
	v_sub_nc_u32_e32 v16, 0x3f1, v17
	v_or_b32_e32 v22, 0x1000, v0
	v_and_b32_e32 v21, 7, v18
	v_lshrrev_b32_e32 v9, 2, v18
	v_cndmask_b32_e64 v20, 0, 1, vcc_lo
	v_cmp_gt_i32_e32 vcc_lo, 31, v25
	v_med3_i32 v16, v16, 0, 13
	v_cmp_eq_u32_e64 s0, 3, v21
	v_lshrrev_b32_e32 v25, 16, v6
	v_lshl_or_b32 v20, v20, 9, 0x7c00
	v_cndmask_b32_e32 v3, 0x7c00, v3, vcc_lo
	v_cmp_lt_i32_e32 vcc_lo, 5, v21
	v_lshrrev_b32_e32 v21, v16, v22
	v_and_or_b32 v14, 0x1ff, v15, v14
	v_bfe_u32 v23, v15, 20, 11
	v_cndmask_b32_e64 v3, v3, v20, s1
	s_or_b32 vcc_lo, s0, vcc_lo
	v_lshlrev_b32_e32 v16, v16, v21
	v_add_co_ci_u32_e32 v9, vcc_lo, 0, v9, vcc_lo
	s_waitcnt lgkmcnt(0)
	v_lshrrev_b32_e32 v18, 16, v4
	v_cmp_ne_u32_e32 vcc_lo, 0, v12
	v_and_or_b32 v3, 0x8000, v25, v3
	v_mul_f16_sdwa v20, v101, v18 dst_sel:DWORD dst_unused:UNUSED_PAD src0_sel:WORD_1 src1_sel:DWORD
	v_cndmask_b32_e64 v12, 0, 1, vcc_lo
	v_cmp_gt_i32_e32 vcc_lo, 31, v7
	v_fmac_f16_e32 v20, v101, v4
	v_mul_f16_sdwa v4, v101, v4 dst_sel:DWORD dst_unused:UNUSED_PAD src0_sel:WORD_1 src1_sel:DWORD
	v_cndmask_b32_e32 v9, 0x7c00, v9, vcc_lo
	v_cmp_ne_u32_e32 vcc_lo, v16, v22
	v_add_nc_u32_e32 v22, 0xfffffc10, v17
	v_cvt_f32_f16_e32 v17, v20
	v_lshrrev_b32_e32 v20, 8, v15
	v_lshl_or_b32 v12, v12, 9, 0x7c00
	v_cndmask_b32_e64 v16, 0, 1, vcc_lo
	v_cmp_ne_u32_e32 vcc_lo, 0, v14
	v_lshl_or_b32 v24, v22, 12, v0
	v_fma_f16 v4, v101, v18, -v4
	v_lshrrev_b32_e32 v15, 16, v15
	v_or_b32_e32 v21, v21, v16
	v_cvt_f64_f32_e32 v[16:17], v17
	v_cndmask_b32_e64 v14, 0, 1, vcc_lo
	v_cmp_gt_i32_e32 vcc_lo, 1, v22
	v_cvt_f32_f16_e32 v4, v4
	v_and_or_b32 v14, 0xffe, v20, v14
	v_sub_nc_u32_e32 v20, 0x3f1, v23
	v_cndmask_b32_e32 v21, v24, v21, vcc_lo
	v_cmp_eq_u32_e32 vcc_lo, 0x40f, v7
	v_or_b32_e32 v24, 0x1000, v14
	v_med3_i32 v20, v20, 0, 13
	v_cndmask_b32_e32 v26, v9, v12, vcc_lo
	v_and_b32_e32 v9, 7, v21
	v_add_co_u32 v6, vcc_lo, v10, s5
	v_lshrrev_b32_e32 v27, v20, v24
	v_add_co_ci_u32_e32 v7, vcc_lo, s4, v11, vcc_lo
	v_cmp_lt_i32_e32 vcc_lo, 5, v9
	v_cmp_eq_u32_e64 s0, 3, v9
	v_mul_f64 v[9:10], v[16:17], s[2:3]
	v_lshlrev_b32_e32 v18, v20, v27
	v_cvt_f64_f32_e32 v[11:12], v4
	v_lshrrev_b32_e32 v4, 2, v21
	s_or_b32 vcc_lo, s0, vcc_lo
	v_add_nc_u32_e32 v17, 0xfffffc10, v23
	v_cmp_ne_u32_e64 s1, v18, v24
	v_and_b32_e32 v21, 0xffff, v3
	v_add_co_ci_u32_e32 v18, vcc_lo, 0, v4, vcc_lo
	v_cmp_ne_u32_e32 vcc_lo, 0, v0
	v_cndmask_b32_e64 v16, 0, 1, s1
	v_lshl_or_b32 v20, v17, 12, v14
	ds_read2_b32 v[3:4], v109 offset0:56 offset1:252
	v_and_or_b32 v13, 0x8000, v13, v26
	v_cndmask_b32_e64 v0, 0, 1, vcc_lo
	v_cmp_gt_i32_e32 vcc_lo, 31, v22
	v_or_b32_e32 v16, v27, v16
	global_store_dword v[6:7], v19, off
	v_lshl_or_b32 v0, v0, 9, 0x7c00
	v_cndmask_b32_e32 v18, 0x7c00, v18, vcc_lo
	v_cmp_gt_i32_e32 vcc_lo, 1, v17
	v_and_or_b32 v9, 0x1ff, v10, v9
	v_mul_f64 v[11:12], v[11:12], s[2:3]
	v_cndmask_b32_e32 v16, v20, v16, vcc_lo
	v_cmp_eq_u32_e32 vcc_lo, 0x40f, v22
	v_lshl_or_b32 v20, v13, 16, v21
	v_bfe_u32 v21, v10, 20, 11
	v_and_b32_e32 v13, 7, v16
	v_cndmask_b32_e32 v0, v18, v0, vcc_lo
	v_cmp_ne_u32_e32 vcc_lo, 0, v9
	v_lshrrev_b32_e32 v18, 16, v8
	v_lshrrev_b32_e32 v9, 8, v10
	v_cmp_eq_u32_e64 s0, 3, v13
	v_cndmask_b32_e64 v8, 0, 1, vcc_lo
	v_cmp_lt_i32_e32 vcc_lo, 5, v13
	v_lshrrev_b32_e32 v13, 2, v16
	s_waitcnt lgkmcnt(0)
	v_lshrrev_b32_e32 v16, 16, v3
	v_and_or_b32 v0, 0x8000, v18, v0
	v_and_or_b32 v22, 0xffe, v9, v8
	s_or_b32 vcc_lo, s0, vcc_lo
	v_sub_nc_u32_e32 v8, 0x3f1, v21
	v_add_co_ci_u32_e32 v9, vcc_lo, 0, v13, vcc_lo
	v_cmp_ne_u32_e32 vcc_lo, 0, v14
	v_or_b32_e32 v13, 0x1000, v22
	v_mul_f16_sdwa v23, v100, v16 dst_sel:DWORD dst_unused:UNUSED_PAD src0_sel:WORD_1 src1_sel:DWORD
	v_med3_i32 v8, v8, 0, 13
	v_and_or_b32 v11, 0x1ff, v12, v11
	v_cndmask_b32_e64 v14, 0, 1, vcc_lo
	v_cmp_gt_i32_e32 vcc_lo, 31, v17
	v_fmac_f16_e32 v23, v100, v3
	v_lshrrev_b32_e32 v24, v8, v13
	v_lshrrev_b32_e32 v26, 8, v12
	v_lshl_or_b32 v14, v14, 9, 0x7c00
	v_cndmask_b32_e32 v25, 0x7c00, v9, vcc_lo
	v_cmp_ne_u32_e32 vcc_lo, 0, v11
	v_cvt_f32_f16_e32 v9, v23
	v_lshlrev_b32_e32 v23, v8, v24
	v_bfe_u32 v27, v12, 20, 11
	v_add_nc_u32_e32 v18, 0xfffffc10, v21
	v_cndmask_b32_e64 v11, 0, 1, vcc_lo
	v_cmp_eq_u32_e32 vcc_lo, 0x40f, v17
	v_cvt_f64_f32_e32 v[8:9], v9
	v_mul_f16_sdwa v3, v100, v3 dst_sel:DWORD dst_unused:UNUSED_PAD src0_sel:WORD_1 src1_sel:DWORD
	v_and_b32_e32 v0, 0xffff, v0
	v_and_or_b32 v11, 0xffe, v26, v11
	v_cndmask_b32_e32 v17, v25, v14, vcc_lo
	v_cmp_ne_u32_e32 vcc_lo, v23, v13
	v_sub_nc_u32_e32 v14, 0x3f1, v27
	v_lshl_or_b32 v25, v18, 12, v22
	v_or_b32_e32 v23, 0x1000, v11
	v_and_or_b32 v15, 0x8000, v15, v17
	v_cndmask_b32_e64 v13, 0, 1, vcc_lo
	v_fma_f16 v3, v100, v16, -v3
	v_add_nc_u32_e32 v19, 0xfffffc10, v27
	v_lshrrev_b32_e32 v12, 16, v12
	v_lshl_or_b32 v0, v15, 16, v0
	v_or_b32_e32 v21, v24, v13
	v_med3_i32 v24, v14, 0, 13
	v_add_co_u32 v13, vcc_lo, v6, s7
	v_add_co_ci_u32_e32 v14, vcc_lo, s6, v7, vcc_lo
	v_lshrrev_b32_e32 v26, v24, v23
	v_cmp_gt_i32_e32 vcc_lo, 1, v18
	v_mul_f64 v[8:9], v[8:9], s[2:3]
	v_cvt_f32_f16_e32 v3, v3
	global_store_dword v[13:14], v20, off
	v_lshlrev_b32_e32 v7, v24, v26
	v_cndmask_b32_e32 v17, v25, v21, vcc_lo
	v_lshrrev_b32_e32 v25, 16, v10
	v_cvt_f64_f32_e32 v[15:16], v3
	v_lshl_or_b32 v3, v19, 12, v11
	v_cmp_ne_u32_e64 s0, v7, v23
	v_and_b32_e32 v6, 7, v17
	v_cndmask_b32_e64 v7, 0, 1, s0
	v_cmp_lt_i32_e32 vcc_lo, 5, v6
	v_cmp_eq_u32_e64 s0, 3, v6
	v_lshrrev_b32_e32 v6, 2, v17
	v_or_b32_e32 v17, v26, v7
	s_or_b32 vcc_lo, s0, vcc_lo
	v_add_co_ci_u32_e32 v6, vcc_lo, 0, v6, vcc_lo
	v_cmp_ne_u32_e32 vcc_lo, 0, v22
	v_and_or_b32 v20, 0x1ff, v9, v8
	ds_read2_b32 v[7:8], v107 offset0:8 offset1:204
	v_bfe_u32 v23, v9, 20, 11
	v_mul_f64 v[15:16], v[15:16], s[2:3]
	v_cndmask_b32_e64 v21, 0, 1, vcc_lo
	v_add_co_u32 v13, vcc_lo, v13, s5
	v_add_co_ci_u32_e32 v14, vcc_lo, s4, v14, vcc_lo
	v_cmp_gt_i32_e32 vcc_lo, 1, v19
	global_store_dword v[13:14], v0, off
	v_cndmask_b32_e32 v3, v3, v17, vcc_lo
	v_cmp_gt_i32_e32 vcc_lo, 31, v18
	v_lshl_or_b32 v17, v21, 9, 0x7c00
	v_lshrrev_b32_e32 v21, 8, v9
	v_and_b32_e32 v22, 7, v3
	v_cndmask_b32_e32 v6, 0x7c00, v6, vcc_lo
	v_cmp_ne_u32_e32 vcc_lo, 0, v20
	v_lshrrev_b32_e32 v3, 2, v3
	v_cmp_eq_u32_e64 s0, 3, v22
	v_and_or_b32 v15, 0x1ff, v16, v15
	v_cndmask_b32_e64 v20, 0, 1, vcc_lo
	v_cmp_eq_u32_e32 vcc_lo, 0x40f, v18
	v_sub_nc_u32_e32 v18, 0x3f1, v23
	v_and_or_b32 v20, 0xffe, v21, v20
	v_cndmask_b32_e32 v6, v6, v17, vcc_lo
	v_cmp_lt_i32_e32 vcc_lo, 5, v22
	s_waitcnt lgkmcnt(0)
	v_lshrrev_b32_e32 v17, 16, v7
	v_med3_i32 v18, v18, 0, 13
	v_or_b32_e32 v21, 0x1000, v20
	v_and_or_b32 v6, 0x8000, v25, v6
	s_or_b32 vcc_lo, s0, vcc_lo
	v_mul_f16_sdwa v22, v99, v17 dst_sel:DWORD dst_unused:UNUSED_PAD src0_sel:WORD_1 src1_sel:DWORD
	v_add_co_ci_u32_e32 v3, vcc_lo, 0, v3, vcc_lo
	v_cmp_ne_u32_e32 vcc_lo, 0, v11
	v_lshrrev_b32_e32 v24, v18, v21
	v_fmac_f16_e32 v22, v99, v7
	v_mul_f16_sdwa v7, v99, v7 dst_sel:DWORD dst_unused:UNUSED_PAD src0_sel:WORD_1 src1_sel:DWORD
	v_and_b32_e32 v6, 0xffff, v6
	v_cndmask_b32_e64 v10, 0, 1, vcc_lo
	v_cmp_gt_i32_e32 vcc_lo, 31, v19
	v_cvt_f32_f16_e32 v11, v22
	v_lshlrev_b32_e32 v18, v18, v24
	v_fma_f16 v7, v99, v17, -v7
	v_lshl_or_b32 v22, v10, 9, 0x7c00
	v_cndmask_b32_e32 v3, 0x7c00, v3, vcc_lo
	v_cmp_eq_u32_e32 vcc_lo, 0x40f, v19
	v_cvt_f64_f32_e32 v[10:11], v11
	v_lshrrev_b32_e32 v19, 8, v16
	v_cvt_f32_f16_e32 v7, v7
	v_cndmask_b32_e32 v3, v3, v22, vcc_lo
	v_cmp_ne_u32_e32 vcc_lo, 0, v15
	v_bfe_u32 v22, v16, 20, 11
	v_and_or_b32 v3, 0x8000, v12, v3
	v_cndmask_b32_e64 v15, 0, 1, vcc_lo
	v_cmp_ne_u32_e32 vcc_lo, v18, v21
	v_add_nc_u32_e32 v21, 0xfffffc10, v23
	v_lshl_or_b32 v0, v3, 16, v6
	v_and_or_b32 v19, 0xffe, v19, v15
	v_cndmask_b32_e64 v18, 0, 1, vcc_lo
	v_lshl_or_b32 v23, v21, 12, v20
	v_cmp_gt_i32_e32 vcc_lo, 1, v21
	v_sub_nc_u32_e32 v15, 0x3f1, v22
	v_add_nc_u32_e32 v22, 0xfffffc10, v22
	v_or_b32_e32 v18, v24, v18
	v_mul_f64 v[10:11], v[10:11], s[2:3]
	v_or_b32_e32 v24, 0x1000, v19
	v_med3_i32 v15, v15, 0, 13
	v_cndmask_b32_e32 v23, v23, v18, vcc_lo
	v_cvt_f64_f32_e32 v[17:18], v7
	ds_read2_b32 v[6:7], v105 offset0:24 offset1:220
	v_lshrrev_b32_e32 v25, v15, v24
	v_and_b32_e32 v12, 7, v23
	v_lshlrev_b32_e32 v3, v15, v25
	v_cmp_lt_i32_e32 vcc_lo, 5, v12
	v_cmp_eq_u32_e64 s0, 3, v12
	v_add_co_u32 v12, s1, v13, s5
	v_add_co_ci_u32_e64 v13, s1, s4, v14, s1
	v_lshrrev_b32_e32 v14, 2, v23
	s_or_b32 vcc_lo, s0, vcc_lo
	v_cmp_ne_u32_e64 s1, v3, v24
	v_and_or_b32 v10, 0x1ff, v11, v10
	v_lshl_or_b32 v24, v22, 12, v19
	v_add_co_ci_u32_e32 v23, vcc_lo, 0, v14, vcc_lo
	v_cmp_ne_u32_e32 vcc_lo, 0, v20
	v_cndmask_b32_e64 v3, 0, 1, s1
	v_mul_f64 v[14:15], v[17:18], s[2:3]
	v_lshrrev_b32_e32 v18, 8, v11
	global_store_dword v[12:13], v0, off
	v_cndmask_b32_e64 v20, 0, 1, vcc_lo
	v_cmp_gt_i32_e32 vcc_lo, 31, v21
	v_or_b32_e32 v3, v25, v3
	s_waitcnt lgkmcnt(0)
	v_lshrrev_b32_e32 v25, 16, v6
	v_lshl_or_b32 v20, v20, 9, 0x7c00
	v_cndmask_b32_e32 v17, 0x7c00, v23, vcc_lo
	v_cmp_ne_u32_e32 vcc_lo, 0, v10
	v_bfe_u32 v23, v11, 20, 11
	v_mul_f16_sdwa v26, v98, v25 dst_sel:DWORD dst_unused:UNUSED_PAD src0_sel:WORD_1 src1_sel:DWORD
	v_lshrrev_b32_e32 v11, 16, v11
	v_cndmask_b32_e64 v10, 0, 1, vcc_lo
	v_cmp_gt_i32_e32 vcc_lo, 1, v22
	v_fmac_f16_e32 v26, v98, v6
	v_mul_f16_sdwa v6, v98, v6 dst_sel:DWORD dst_unused:UNUSED_PAD src0_sel:WORD_1 src1_sel:DWORD
	v_cndmask_b32_e32 v3, v24, v3, vcc_lo
	v_and_or_b32 v24, 0xffe, v18, v10
	v_sub_nc_u32_e32 v10, 0x3f1, v23
	v_cmp_eq_u32_e32 vcc_lo, 0x40f, v21
	v_lshrrev_b32_e32 v21, 16, v9
	v_and_b32_e32 v0, 7, v3
	v_or_b32_e32 v18, 0x1000, v24
	v_med3_i32 v10, v10, 0, 13
	v_cndmask_b32_e32 v20, v17, v20, vcc_lo
	v_lshrrev_b32_e32 v3, 2, v3
	v_cmp_lt_i32_e32 vcc_lo, 5, v0
	v_cmp_eq_u32_e64 s0, 3, v0
	v_lshrrev_b32_e32 v17, v10, v18
	v_and_or_b32 v0, 0x1ff, v15, v14
	v_cvt_f32_f16_e32 v9, v26
	v_add_nc_u32_e32 v23, 0xfffffc10, v23
	s_or_b32 vcc_lo, s0, vcc_lo
	v_lshlrev_b32_e32 v14, v10, v17
	v_add_co_ci_u32_e32 v3, vcc_lo, 0, v3, vcc_lo
	v_cmp_ne_u32_e32 vcc_lo, 0, v0
	v_cvt_f64_f32_e32 v[9:10], v9
	v_bfe_u32 v27, v15, 20, 11
	v_lshrrev_b32_e32 v26, 8, v15
	v_fma_f16 v6, v98, v25, -v6
	v_cndmask_b32_e64 v0, 0, 1, vcc_lo
	v_cmp_ne_u32_e32 vcc_lo, v14, v18
	v_sub_nc_u32_e32 v18, 0x3f1, v27
	v_and_or_b32 v21, 0x8000, v21, v20
	v_cvt_f32_f16_e32 v6, v6
	v_and_or_b32 v0, 0xffe, v26, v0
	v_cndmask_b32_e64 v14, 0, 1, vcc_lo
	v_cmp_ne_u32_e32 vcc_lo, 0, v19
	v_med3_i32 v28, v18, 0, 13
	v_and_b32_e32 v21, 0xffff, v21
	v_or_b32_e32 v26, 0x1000, v0
	v_or_b32_e32 v14, v17, v14
	v_cndmask_b32_e64 v19, 0, 1, vcc_lo
	v_cmp_gt_i32_e32 vcc_lo, 31, v22
	v_lshl_or_b32 v17, v23, 12, v24
	v_lshrrev_b32_e32 v29, v28, v26
	v_lshrrev_b32_e32 v15, 16, v15
	v_lshl_or_b32 v19, v19, 9, 0x7c00
	v_cndmask_b32_e32 v3, 0x7c00, v3, vcc_lo
	v_cmp_gt_i32_e32 vcc_lo, 1, v23
	v_cndmask_b32_e32 v14, v17, v14, vcc_lo
	v_mul_f64 v[17:18], v[9:10], s[2:3]
	v_cmp_eq_u32_e32 vcc_lo, 0x40f, v22
	v_lshrrev_b32_e32 v9, 16, v16
	v_lshlrev_b32_e32 v16, v28, v29
	v_and_b32_e32 v10, 7, v14
	v_lshrrev_b32_e32 v14, 2, v14
	v_cndmask_b32_e32 v3, v3, v19, vcc_lo
	v_cvt_f64_f32_e32 v[19:20], v6
	v_cmp_ne_u32_e64 s1, v16, v26
	v_cmp_lt_i32_e32 vcc_lo, 5, v10
	v_cmp_eq_u32_e64 s0, 3, v10
	v_and_or_b32 v3, 0x8000, v9, v3
	ds_read2_b32 v[9:10], v104 offset0:40 offset1:236
	v_cndmask_b32_e64 v6, 0, 1, s1
	v_add_nc_u32_e32 v22, 0xfffffc10, v27
	s_or_b32 vcc_lo, s0, vcc_lo
	v_lshl_or_b32 v21, v3, 16, v21
	v_add_co_ci_u32_e32 v14, vcc_lo, 0, v14, vcc_lo
	v_cmp_ne_u32_e32 vcc_lo, 0, v24
	v_or_b32_e32 v6, v29, v6
	v_and_or_b32 v16, 0x1ff, v18, v17
	v_lshl_or_b32 v17, v22, 12, v0
	v_cndmask_b32_e64 v24, 0, 1, vcc_lo
	v_cmp_gt_i32_e32 vcc_lo, 31, v23
	v_lshrrev_b32_e32 v26, 8, v18
	v_bfe_u32 v27, v18, 20, 11
	v_lshrrev_b32_e32 v18, 16, v18
	v_lshl_or_b32 v24, v24, 9, 0x7c00
	v_cndmask_b32_e32 v14, 0x7c00, v14, vcc_lo
	v_cmp_ne_u32_e32 vcc_lo, 0, v16
	s_waitcnt lgkmcnt(0)
	v_lshrrev_b32_e32 v28, 16, v9
	v_cndmask_b32_e64 v25, 0, 1, vcc_lo
	v_cmp_gt_i32_e32 vcc_lo, 1, v22
	v_and_or_b32 v25, 0xffe, v26, v25
	v_cndmask_b32_e32 v6, v17, v6, vcc_lo
	v_mul_f64 v[16:17], v[19:20], s[2:3]
	v_sub_nc_u32_e32 v19, 0x3f1, v27
	v_mul_f16_sdwa v20, v97, v28 dst_sel:DWORD dst_unused:UNUSED_PAD src0_sel:WORD_1 src1_sel:DWORD
	v_cmp_eq_u32_e32 vcc_lo, 0x40f, v23
	v_and_b32_e32 v26, 7, v6
	v_or_b32_e32 v29, 0x1000, v25
	v_med3_i32 v19, v19, 0, 13
	v_fmac_f16_e32 v20, v97, v9
	v_cndmask_b32_e32 v14, v14, v24, vcc_lo
	v_cmp_lt_i32_e32 vcc_lo, 5, v26
	v_cmp_eq_u32_e64 s0, 3, v26
	v_lshrrev_b32_e32 v6, 2, v6
	v_lshrrev_b32_e32 v23, v19, v29
	v_cvt_f32_f16_e32 v20, v20
	v_and_or_b32 v11, 0x8000, v11, v14
	s_or_b32 vcc_lo, s0, vcc_lo
	v_add_nc_u32_e32 v27, 0xfffffc10, v27
	v_add_co_ci_u32_e32 v6, vcc_lo, 0, v6, vcc_lo
	v_cmp_ne_u32_e32 vcc_lo, 0, v0
	v_lshlrev_b32_e32 v24, v19, v23
	v_cvt_f64_f32_e32 v[19:20], v20
	v_and_or_b32 v16, 0x1ff, v17, v16
	v_bfe_u32 v26, v17, 20, 11
	v_cndmask_b32_e64 v0, 0, 1, vcc_lo
	v_cmp_gt_i32_e32 vcc_lo, 31, v22
	v_mul_f16_sdwa v9, v97, v9 dst_sel:DWORD dst_unused:UNUSED_PAD src0_sel:WORD_1 src1_sel:DWORD
	v_lshl_or_b32 v0, v0, 9, 0x7c00
	v_cndmask_b32_e32 v6, 0x7c00, v6, vcc_lo
	v_cmp_ne_u32_e32 vcc_lo, v24, v29
	v_lshrrev_b32_e32 v24, 8, v17
	v_fma_f16 v9, v97, v28, -v9
	v_cndmask_b32_e64 v14, 0, 1, vcc_lo
	v_cmp_ne_u32_e32 vcc_lo, 0, v16
	v_cvt_f32_f16_e32 v9, v9
	v_cndmask_b32_e64 v16, 0, 1, vcc_lo
	v_cmp_eq_u32_e32 vcc_lo, 0x40f, v22
	v_mul_f64 v[19:20], v[19:20], s[2:3]
	v_and_or_b32 v22, 0xffe, v24, v16
	v_cndmask_b32_e32 v0, v6, v0, vcc_lo
	v_or_b32_e32 v6, v23, v14
	v_sub_nc_u32_e32 v14, 0x3f1, v26
	v_lshl_or_b32 v16, v27, 12, v25
	v_cmp_gt_i32_e32 vcc_lo, 1, v27
	v_or_b32_e32 v23, 0x1000, v22
	v_and_or_b32 v0, 0x8000, v15, v0
	v_med3_i32 v14, v14, 0, 13
	v_cndmask_b32_e32 v6, v16, v6, vcc_lo
	v_and_b32_e32 v16, 0xffff, v11
	v_add_co_u32 v11, vcc_lo, v12, s5
	v_lshrrev_b32_e32 v3, v14, v23
	v_and_b32_e32 v24, 7, v6
	v_add_co_ci_u32_e32 v12, vcc_lo, s4, v13, vcc_lo
	v_lshrrev_b32_e32 v6, 2, v6
	v_lshlrev_b32_e32 v28, v14, v3
	v_cvt_f64_f32_e32 v[14:15], v9
	v_cmp_lt_i32_e32 vcc_lo, 5, v24
	v_cmp_eq_u32_e64 s0, 3, v24
	v_and_or_b32 v9, 0x1ff, v20, v19
	v_cmp_ne_u32_e64 s1, v28, v23
	v_add_nc_u32_e32 v19, 0xfffffc10, v26
	v_lshrrev_b32_e32 v24, 8, v20
	s_or_b32 vcc_lo, s0, vcc_lo
	v_bfe_u32 v26, v20, 20, 11
	v_add_co_ci_u32_e32 v6, vcc_lo, 0, v6, vcc_lo
	v_cmp_ne_u32_e32 vcc_lo, 0, v9
	v_cndmask_b32_e64 v13, 0, 1, s1
	v_lshl_or_b32 v23, v19, 12, v22
	v_lshl_or_b32 v0, v0, 16, v16
	v_cmp_eq_u32_e64 s1, 0x40f, v19
	v_cndmask_b32_e64 v9, 0, 1, vcc_lo
	v_cmp_ne_u32_e32 vcc_lo, 0, v25
	v_or_b32_e32 v3, v3, v13
	v_lshrrev_b32_e32 v20, 16, v20
	v_and_or_b32 v9, 0xffe, v24, v9
	v_cndmask_b32_e64 v25, 0, 1, vcc_lo
	v_cmp_gt_i32_e32 vcc_lo, 1, v19
	v_mul_f64 v[13:14], v[14:15], s[2:3]
	v_sub_nc_u32_e32 v15, 0x3f1, v26
	v_or_b32_e32 v24, 0x1000, v9
	v_cndmask_b32_e32 v3, v23, v3, vcc_lo
	v_cmp_gt_i32_e32 vcc_lo, 31, v27
	v_med3_i32 v15, v15, 0, 13
	v_lshl_or_b32 v23, v25, 9, 0x7c00
	v_and_b32_e32 v25, 7, v3
	v_cndmask_b32_e32 v6, 0x7c00, v6, vcc_lo
	v_cmp_eq_u32_e32 vcc_lo, 0x40f, v27
	v_lshrrev_b32_e32 v16, v15, v24
	v_lshrrev_b32_e32 v3, 2, v3
	v_cmp_eq_u32_e64 s0, 3, v25
	v_cndmask_b32_e32 v6, v6, v23, vcc_lo
	v_cmp_lt_i32_e32 vcc_lo, 5, v25
	v_lshrrev_b32_e32 v23, 16, v2
	v_lshlrev_b32_e32 v15, v15, v16
	v_and_or_b32 v6, 0x8000, v18, v6
	s_or_b32 vcc_lo, s0, vcc_lo
	v_mul_f16_sdwa v25, v96, v23 dst_sel:DWORD dst_unused:UNUSED_PAD src0_sel:WORD_1 src1_sel:DWORD
	v_add_co_ci_u32_e32 v3, vcc_lo, 0, v3, vcc_lo
	v_and_or_b32 v13, 0x1ff, v14, v13
	v_cmp_ne_u32_e32 vcc_lo, v15, v24
	v_fmac_f16_e32 v25, v96, v2
	v_add_nc_u32_e32 v24, 0xfffffc10, v26
	v_bfe_u32 v26, v14, 20, 11
	v_mul_f16_sdwa v2, v96, v2 dst_sel:DWORD dst_unused:UNUSED_PAD src0_sel:WORD_1 src1_sel:DWORD
	v_cndmask_b32_e64 v15, 0, 1, vcc_lo
	v_cmp_ne_u32_e32 vcc_lo, 0, v13
	v_cvt_f32_f16_e32 v18, v25
	v_lshrrev_b32_e32 v25, 8, v14
	v_lshl_or_b32 v28, v24, 12, v9
	v_or_b32_e32 v27, v16, v15
	v_cndmask_b32_e64 v13, 0, 1, vcc_lo
	v_cmp_gt_i32_e32 vcc_lo, 1, v24
	v_cvt_f64_f32_e32 v[15:16], v18
	v_sub_nc_u32_e32 v18, 0x3f1, v26
	v_fma_f16 v2, v96, v23, -v2
	v_and_or_b32 v13, 0xffe, v25, v13
	v_cndmask_b32_e32 v25, v28, v27, vcc_lo
	v_cmp_ne_u32_e32 vcc_lo, 0, v22
	v_med3_i32 v18, v18, 0, 13
	v_cvt_f32_f16_e32 v23, v2
	v_or_b32_e32 v27, 0x1000, v13
	v_and_b32_e32 v28, 7, v25
	v_cndmask_b32_e64 v22, 0, 1, vcc_lo
	v_cmp_gt_i32_e32 vcc_lo, 31, v19
	v_and_b32_e32 v6, 0xffff, v6
	v_lshrrev_b32_e32 v29, v18, v27
	v_cmp_eq_u32_e64 s0, 3, v28
	v_lshl_or_b32 v22, v22, 9, 0x7c00
	v_cndmask_b32_e32 v3, 0x7c00, v3, vcc_lo
	v_cmp_lt_i32_e32 vcc_lo, 5, v28
	v_lshlrev_b32_e32 v18, v18, v29
	v_lshrrev_b32_e32 v14, 16, v14
	v_cndmask_b32_e64 v19, v3, v22, s1
	v_lshrrev_b32_e32 v22, 2, v25
	s_or_b32 vcc_lo, s0, vcc_lo
	v_mul_f64 v[2:3], v[15:16], s[2:3]
	v_cvt_f64_f32_e32 v[15:16], v23
	v_add_nc_u32_e32 v23, 0xfffffc10, v26
	v_add_co_ci_u32_e32 v22, vcc_lo, 0, v22, vcc_lo
	v_cmp_ne_u32_e32 vcc_lo, v18, v27
	v_lshrrev_b32_e32 v25, 16, v17
	v_lshl_or_b32 v27, v23, 12, v13
	v_cndmask_b32_e64 v18, 0, 1, vcc_lo
	v_cmp_ne_u32_e32 vcc_lo, 0, v9
	v_and_or_b32 v19, 0x8000, v25, v19
	v_or_b32_e32 v26, v29, v18
	v_cndmask_b32_e64 v9, 0, 1, vcc_lo
	v_cmp_gt_i32_e32 vcc_lo, 31, v24
	v_lshl_or_b32 v6, v19, 16, v6
	v_lshl_or_b32 v9, v9, 9, 0x7c00
	v_cndmask_b32_e32 v22, 0x7c00, v22, vcc_lo
	v_add_co_u32 v17, vcc_lo, v11, s5
	v_add_co_ci_u32_e32 v18, vcc_lo, s4, v12, vcc_lo
	v_cmp_gt_i32_e32 vcc_lo, 1, v23
	v_and_or_b32 v2, 0x1ff, v3, v2
	v_mul_f64 v[15:16], v[15:16], s[2:3]
	global_store_dword v[11:12], v21, off
	global_store_dword v[17:18], v0, off
	v_lshrrev_b32_e32 v11, 8, v3
	v_cndmask_b32_e32 v25, v27, v26, vcc_lo
	v_cmp_eq_u32_e32 vcc_lo, 0x40f, v24
	v_cmp_ne_u32_e64 s0, 0, v2
	v_bfe_u32 v19, v3, 20, 11
	v_lshrrev_b32_e32 v0, 16, v1
	v_lshrrev_b32_e32 v21, 2, v25
	v_cndmask_b32_e32 v9, v22, v9, vcc_lo
	v_and_b32_e32 v22, 7, v25
	v_cndmask_b32_e64 v2, 0, 1, s0
	v_mul_f16_sdwa v12, v95, v0 dst_sel:DWORD dst_unused:UNUSED_PAD src0_sel:WORD_1 src1_sel:DWORD
	v_lshrrev_b32_e32 v3, 16, v3
	v_and_or_b32 v9, 0x8000, v20, v9
	v_cmp_lt_i32_e32 vcc_lo, 5, v22
	v_cmp_eq_u32_e64 s0, 3, v22
	v_and_or_b32 v2, 0xffe, v11, v2
	v_sub_nc_u32_e32 v11, 0x3f1, v19
	v_fmac_f16_e32 v12, v95, v1
	v_add_nc_u32_e32 v19, 0xfffffc10, v19
	s_or_b32 vcc_lo, s0, vcc_lo
	v_or_b32_e32 v22, 0x1000, v2
	v_add_co_ci_u32_e32 v21, vcc_lo, 0, v21, vcc_lo
	v_cmp_ne_u32_e32 vcc_lo, 0, v13
	v_med3_i32 v24, v11, 0, 13
	v_and_or_b32 v15, 0x1ff, v16, v15
	v_cvt_f32_f16_e32 v11, v12
	v_lshrrev_b32_e32 v26, 8, v16
	v_cndmask_b32_e64 v13, 0, 1, vcc_lo
	v_cmp_gt_i32_e32 vcc_lo, 31, v23
	v_lshrrev_b32_e32 v25, v24, v22
	v_bfe_u32 v27, v16, 20, 11
	v_cvt_f64_f32_e32 v[11:12], v11
	v_lshl_or_b32 v13, v13, 9, 0x7c00
	v_cndmask_b32_e32 v21, 0x7c00, v21, vcc_lo
	v_cmp_ne_u32_e32 vcc_lo, 0, v15
	v_lshlrev_b32_e32 v24, v24, v25
	v_sub_nc_u32_e32 v20, 0x3f1, v27
	v_mul_f16_sdwa v1, v95, v1 dst_sel:DWORD dst_unused:UNUSED_PAD src0_sel:WORD_1 src1_sel:DWORD
	v_and_b32_e32 v9, 0xffff, v9
	v_cndmask_b32_e64 v15, 0, 1, vcc_lo
	v_cmp_ne_u32_e32 vcc_lo, v24, v22
	v_med3_i32 v20, v20, 0, 13
	v_and_or_b32 v15, 0xffe, v26, v15
	v_cndmask_b32_e64 v22, 0, 1, vcc_lo
	v_cmp_eq_u32_e32 vcc_lo, 0x40f, v23
	v_or_b32_e32 v24, 0x1000, v15
	v_cndmask_b32_e32 v13, v21, v13, vcc_lo
	v_or_b32_e32 v21, v25, v22
	v_lshl_or_b32 v22, v19, 12, v2
	v_lshrrev_b32_e32 v23, v20, v24
	v_cmp_gt_i32_e32 vcc_lo, 1, v19
	v_mul_f64 v[11:12], v[11:12], s[2:3]
	v_cndmask_b32_e32 v21, v22, v21, vcc_lo
	v_and_or_b32 v22, 0x8000, v14, v13
	v_lshlrev_b32_e32 v13, v20, v23
	v_fma_f16 v14, v95, v0, -v1
	v_add_co_u32 v0, vcc_lo, v17, s5
	v_and_b32_e32 v20, 7, v21
	v_cmp_ne_u32_e64 s0, v13, v24
	v_add_co_ci_u32_e32 v1, vcc_lo, s4, v18, vcc_lo
	v_cvt_f32_f16_e32 v14, v14
	v_cmp_lt_i32_e32 vcc_lo, 5, v20
	v_cndmask_b32_e64 v17, 0, 1, s0
	v_cmp_eq_u32_e64 s0, 3, v20
	v_lshrrev_b32_e32 v20, 2, v21
	v_cvt_f64_f32_e32 v[13:14], v14
	v_add_nc_u32_e32 v18, 0xfffffc10, v27
	v_or_b32_e32 v17, v23, v17
	s_or_b32 vcc_lo, s0, vcc_lo
	v_and_or_b32 v11, 0x1ff, v12, v11
	v_add_co_ci_u32_e32 v20, vcc_lo, 0, v20, vcc_lo
	v_cmp_ne_u32_e32 vcc_lo, 0, v2
	v_lshl_or_b32 v21, v18, 12, v15
	v_lshl_or_b32 v9, v22, 16, v9
	v_lshrrev_b32_e32 v22, 8, v12
	v_bfe_u32 v23, v12, 20, 11
	v_cndmask_b32_e64 v2, 0, 1, vcc_lo
	v_cmp_gt_i32_e32 vcc_lo, 1, v18
	global_store_dword v[0:1], v6, off
	v_lshrrev_b32_e32 v12, 16, v12
	v_lshl_or_b32 v2, v2, 9, 0x7c00
	v_cndmask_b32_e32 v17, v21, v17, vcc_lo
	v_cmp_gt_i32_e32 vcc_lo, 31, v19
	v_mul_f64 v[13:14], v[13:14], s[2:3]
	v_and_b32_e32 v21, 7, v17
	v_cndmask_b32_e32 v20, 0x7c00, v20, vcc_lo
	v_cmp_ne_u32_e32 vcc_lo, 0, v11
	v_lshrrev_b32_e32 v17, 2, v17
	v_cmp_eq_u32_e64 s0, 3, v21
	v_cndmask_b32_e64 v11, 0, 1, vcc_lo
	v_cmp_eq_u32_e32 vcc_lo, 0x40f, v19
	v_sub_nc_u32_e32 v19, 0x3f1, v23
	v_and_or_b32 v11, 0xffe, v22, v11
	v_cndmask_b32_e32 v2, v20, v2, vcc_lo
	v_cmp_lt_i32_e32 vcc_lo, 5, v21
	v_lshrrev_b32_e32 v20, 16, v5
	v_med3_i32 v19, v19, 0, 13
	v_or_b32_e32 v21, 0x1000, v11
	v_and_or_b32 v25, 0x8000, v3, v2
	s_or_b32 vcc_lo, s0, vcc_lo
	v_mul_f16_sdwa v22, v94, v20 dst_sel:DWORD dst_unused:UNUSED_PAD src0_sel:WORD_1 src1_sel:DWORD
	v_add_co_ci_u32_e32 v17, vcc_lo, 0, v17, vcc_lo
	v_cmp_ne_u32_e32 vcc_lo, 0, v15
	v_and_or_b32 v13, 0x1ff, v14, v13
	v_lshrrev_b32_e32 v24, v19, v21
	v_fmac_f16_e32 v22, v94, v5
	v_mul_f16_sdwa v5, v94, v5 dst_sel:DWORD dst_unused:UNUSED_PAD src0_sel:WORD_1 src1_sel:DWORD
	v_cndmask_b32_e64 v15, 0, 1, vcc_lo
	v_cmp_gt_i32_e32 vcc_lo, 31, v18
	v_lshlrev_b32_e32 v19, v19, v24
	v_cvt_f32_f16_e32 v22, v22
	v_lshl_or_b32 v15, v15, 9, 0x7c00
	v_cndmask_b32_e32 v17, 0x7c00, v17, vcc_lo
	v_cmp_eq_u32_e32 vcc_lo, 0x40f, v18
	v_bfe_u32 v18, v14, 20, 11
	v_cvt_f64_f32_e32 v[2:3], v22
	v_lshrrev_b32_e32 v22, 16, v16
	v_cndmask_b32_e32 v17, v17, v15, vcc_lo
	v_cmp_ne_u32_e32 vcc_lo, 0, v13
	v_lshrrev_b32_e32 v15, 8, v14
	v_lshrrev_b32_e32 v14, 16, v14
	v_and_or_b32 v17, 0x8000, v22, v17
	v_cndmask_b32_e64 v13, 0, 1, vcc_lo
	v_cmp_ne_u32_e32 vcc_lo, v19, v21
	v_add_nc_u32_e32 v21, 0xfffffc10, v23
	v_and_b32_e32 v22, 0xffff, v25
	v_and_or_b32 v13, 0xffe, v15, v13
	v_sub_nc_u32_e32 v15, 0x3f1, v18
	v_cndmask_b32_e64 v19, 0, 1, vcc_lo
	v_lshl_or_b32 v23, v21, 12, v11
	v_med3_i32 v26, v15, 0, 13
	v_add_co_u32 v15, vcc_lo, v0, s5
	v_add_co_ci_u32_e32 v16, vcc_lo, s4, v1, vcc_lo
	v_or_b32_e32 v19, v24, v19
	v_cmp_gt_i32_e32 vcc_lo, 1, v21
	v_or_b32_e32 v24, 0x1000, v13
	v_fma_f16 v0, v94, v20, -v5
	v_mul_f64 v[2:3], v[2:3], s[2:3]
	global_store_dword v[15:16], v9, off
	v_cndmask_b32_e32 v19, v23, v19, vcc_lo
	v_lshrrev_b32_e32 v23, v26, v24
	v_lshl_or_b32 v9, v17, 16, v22
	v_cvt_f32_f16_e32 v0, v0
	v_add_nc_u32_e32 v17, 0xfffffc10, v18
	v_and_b32_e32 v1, 7, v19
	v_lshlrev_b32_e32 v5, v26, v23
	v_lshrrev_b32_e32 v6, 2, v19
	v_lshl_or_b32 v20, v17, 12, v13
	v_cmp_lt_i32_e32 vcc_lo, 5, v1
	v_cmp_eq_u32_e64 s0, 3, v1
	v_cmp_ne_u32_e64 s1, v5, v24
	v_cvt_f64_f32_e32 v[0:1], v0
	s_or_b32 vcc_lo, s0, vcc_lo
	v_cndmask_b32_e64 v5, 0, 1, s1
	v_add_co_ci_u32_e32 v18, vcc_lo, 0, v6, vcc_lo
	v_cmp_ne_u32_e32 vcc_lo, 0, v11
	v_and_or_b32 v2, 0x1ff, v3, v2
	v_or_b32_e32 v19, v23, v5
	v_cmp_eq_u32_e64 s1, 0x40f, v21
	v_cndmask_b32_e64 v11, 0, 1, vcc_lo
	v_add_co_u32 v5, vcc_lo, v15, s7
	v_add_co_ci_u32_e32 v6, vcc_lo, s6, v16, vcc_lo
	v_cmp_gt_i32_e32 vcc_lo, 1, v17
	v_lshl_or_b32 v11, v11, 9, 0x7c00
	global_store_dword v[5:6], v9, off
	v_cndmask_b32_e32 v15, v20, v19, vcc_lo
	v_cmp_gt_i32_e32 vcc_lo, 31, v21
	v_bfe_u32 v19, v3, 20, 11
	v_mul_f64 v[0:1], v[0:1], s[2:3]
	v_and_b32_e32 v20, 7, v15
	v_cndmask_b32_e32 v16, 0x7c00, v18, vcc_lo
	v_cmp_ne_u32_e32 vcc_lo, 0, v2
	v_lshrrev_b32_e32 v18, 8, v3
	v_sub_nc_u32_e32 v22, 0x3f1, v19
	v_cmp_eq_u32_e64 s0, 3, v20
	v_lshrrev_b32_e32 v15, 2, v15
	v_cndmask_b32_e64 v2, 0, 1, vcc_lo
	v_cmp_lt_i32_e32 vcc_lo, 5, v20
	v_med3_i32 v22, v22, 0, 13
	v_cndmask_b32_e64 v11, v16, v11, s1
	v_add_nc_u32_e32 v19, 0xfffffc10, v19
	v_and_or_b32 v2, 0xffe, v18, v2
	v_lshrrev_b32_e32 v18, 16, v4
	s_or_b32 vcc_lo, s0, vcc_lo
	v_lshrrev_b32_e32 v3, 16, v3
	v_add_co_ci_u32_e32 v15, vcc_lo, 0, v15, vcc_lo
	v_or_b32_e32 v20, 0x1000, v2
	v_mul_f16_sdwa v23, v93, v18 dst_sel:DWORD dst_unused:UNUSED_PAD src0_sel:WORD_1 src1_sel:DWORD
	v_cmp_ne_u32_e32 vcc_lo, 0, v13
	v_and_or_b32 v0, 0x1ff, v1, v0
	v_bfe_u32 v24, v1, 20, 11
	v_lshrrev_b32_e32 v21, v22, v20
	v_fmac_f16_e32 v23, v93, v4
	v_cndmask_b32_e64 v13, 0, 1, vcc_lo
	v_cmp_gt_i32_e32 vcc_lo, 31, v17
	v_mul_f16_sdwa v4, v93, v4 dst_sel:DWORD dst_unused:UNUSED_PAD src0_sel:WORD_1 src1_sel:DWORD
	v_lshlrev_b32_e32 v22, v22, v21
	v_cvt_f32_f16_e32 v16, v23
	v_lshl_or_b32 v13, v13, 9, 0x7c00
	v_cndmask_b32_e32 v23, 0x7c00, v15, vcc_lo
	v_fma_f16 v4, v93, v18, -v4
	v_cmp_ne_u32_e32 vcc_lo, v22, v20
	v_cvt_f64_f32_e32 v[15:16], v16
	v_lshrrev_b32_e32 v22, 8, v1
	v_lshrrev_b32_e32 v1, 16, v1
	v_cvt_f32_f16_e32 v4, v4
	v_cndmask_b32_e64 v20, 0, 1, vcc_lo
	v_cmp_ne_u32_e32 vcc_lo, 0, v0
	v_or_b32_e32 v20, v21, v20
	v_cndmask_b32_e64 v0, 0, 1, vcc_lo
	v_cmp_eq_u32_e32 vcc_lo, 0x40f, v17
	v_lshl_or_b32 v21, v19, 12, v2
	v_and_or_b32 v0, 0xffe, v22, v0
	v_sub_nc_u32_e32 v22, 0x3f1, v24
	v_cndmask_b32_e32 v13, v23, v13, vcc_lo
	v_cmp_gt_i32_e32 vcc_lo, 1, v19
	v_and_or_b32 v13, 0x8000, v14, v13
	v_cndmask_b32_e32 v17, v21, v20, vcc_lo
	v_or_b32_e32 v20, 0x1000, v0
	v_med3_i32 v21, v22, 0, 13
	v_and_or_b32 v22, 0x8000, v12, v11
	v_mul_f64 v[11:12], v[15:16], s[2:3]
	v_and_b32_e32 v14, 7, v17
	v_lshrrev_b32_e32 v15, v21, v20
	v_and_b32_e32 v16, 0xffff, v22
	v_cmp_lt_i32_e32 vcc_lo, 5, v14
	v_cmp_eq_u32_e64 s0, 3, v14
	v_lshlrev_b32_e32 v9, v21, v15
	v_lshl_or_b32 v18, v13, 16, v16
	v_lshrrev_b32_e32 v16, 2, v17
	v_cvt_f64_f32_e32 v[13:14], v4
	s_or_b32 vcc_lo, s0, vcc_lo
	v_cmp_ne_u32_e64 s1, v9, v20
	v_add_nc_u32_e32 v17, 0xfffffc10, v24
	v_add_co_ci_u32_e32 v4, vcc_lo, 0, v16, vcc_lo
	v_cmp_ne_u32_e32 vcc_lo, 0, v2
	v_cndmask_b32_e64 v9, 0, 1, s1
	v_lshrrev_b32_e32 v21, 16, v8
	v_and_or_b32 v11, 0x1ff, v12, v11
	v_or_b32_e32 v9, v15, v9
	v_lshl_or_b32 v15, v17, 12, v0
	v_cndmask_b32_e64 v2, 0, 1, vcc_lo
	v_cmp_gt_i32_e32 vcc_lo, 1, v17
	v_bfe_u32 v20, v12, 20, 11
	v_lshl_or_b32 v2, v2, 9, 0x7c00
	v_cndmask_b32_e32 v9, v15, v9, vcc_lo
	v_cmp_ne_u32_e32 vcc_lo, 0, v11
	v_lshrrev_b32_e32 v15, 8, v12
	v_mul_f64 v[13:14], v[13:14], s[2:3]
	v_lshrrev_b32_e32 v12, 16, v12
	v_and_b32_e32 v16, 7, v9
	v_cndmask_b32_e64 v11, 0, 1, vcc_lo
	v_cmp_gt_i32_e32 vcc_lo, 31, v19
	v_lshrrev_b32_e32 v9, 2, v9
	v_cmp_eq_u32_e64 s0, 3, v16
	v_and_or_b32 v11, 0xffe, v15, v11
	v_cndmask_b32_e32 v22, 0x7c00, v4, vcc_lo
	v_sub_nc_u32_e32 v4, 0x3f1, v20
	v_mul_f16_sdwa v15, v92, v21 dst_sel:DWORD dst_unused:UNUSED_PAD src0_sel:WORD_1 src1_sel:DWORD
	v_cmp_lt_i32_e32 vcc_lo, 5, v16
	v_or_b32_e32 v23, 0x1000, v11
	v_med3_i32 v4, v4, 0, 13
	v_fmac_f16_e32 v15, v92, v8
	s_or_b32 vcc_lo, s0, vcc_lo
	v_add_co_ci_u32_e32 v9, vcc_lo, 0, v9, vcc_lo
	v_lshrrev_b32_e32 v24, v4, v23
	v_cvt_f32_f16_e32 v15, v15
	v_lshlrev_b32_e32 v25, v4, v24
	v_add_co_u32 v4, vcc_lo, v5, s5
	v_add_co_ci_u32_e32 v5, vcc_lo, s4, v6, vcc_lo
	v_cmp_ne_u32_e32 vcc_lo, 0, v0
	v_cvt_f64_f32_e32 v[15:16], v15
	global_store_dword v[4:5], v18, off
	v_cndmask_b32_e64 v0, 0, 1, vcc_lo
	v_cmp_eq_u32_e32 vcc_lo, 0x40f, v19
	v_add_nc_u32_e32 v19, 0xfffffc10, v20
	v_lshl_or_b32 v0, v0, 9, 0x7c00
	v_cndmask_b32_e32 v2, v22, v2, vcc_lo
	v_cmp_gt_i32_e32 vcc_lo, 31, v17
	v_lshl_or_b32 v20, v19, 12, v11
	v_and_or_b32 v2, 0x8000, v3, v2
	v_cndmask_b32_e32 v6, 0x7c00, v9, vcc_lo
	v_cmp_ne_u32_e32 vcc_lo, v25, v23
	v_and_or_b32 v9, 0x1ff, v14, v13
	v_and_b32_e32 v2, 0xffff, v2
	v_cndmask_b32_e64 v13, 0, 1, vcc_lo
	v_cmp_eq_u32_e32 vcc_lo, 0x40f, v17
	v_mul_f64 v[15:16], v[15:16], s[2:3]
	v_bfe_u32 v17, v14, 20, 11
	v_cndmask_b32_e32 v0, v6, v0, vcc_lo
	v_cmp_ne_u32_e32 vcc_lo, 0, v9
	v_or_b32_e32 v6, v24, v13
	v_lshrrev_b32_e32 v13, 8, v14
	v_sub_nc_u32_e32 v3, 0x3f1, v17
	v_and_or_b32 v0, 0x8000, v1, v0
	v_cndmask_b32_e64 v9, 0, 1, vcc_lo
	v_cmp_gt_i32_e32 vcc_lo, 1, v19
	v_lshrrev_b32_e32 v14, 16, v14
	v_med3_i32 v1, v3, 0, 13
	v_mul_f16_sdwa v3, v92, v8 dst_sel:DWORD dst_unused:UNUSED_PAD src0_sel:WORD_1 src1_sel:DWORD
	v_and_or_b32 v9, 0xffe, v13, v9
	v_cndmask_b32_e32 v6, v20, v6, vcc_lo
	v_lshl_or_b32 v2, v0, 16, v2
	v_add_co_u32 v0, s1, v4, s5
	v_or_b32_e32 v13, 0x1000, v9
	v_fma_f16 v3, v92, v21, -v3
	v_and_b32_e32 v8, 7, v6
	v_and_or_b32 v15, 0x1ff, v16, v15
	v_bfe_u32 v20, v16, 20, 11
	v_lshrrev_b32_e32 v18, v1, v13
	v_cvt_f32_f16_e32 v3, v3
	v_cmp_lt_i32_e32 vcc_lo, 5, v8
	v_cmp_eq_u32_e64 s0, 3, v8
	v_lshrrev_b32_e32 v21, 16, v7
	v_lshlrev_b32_e32 v8, v1, v18
	v_add_co_ci_u32_e64 v1, s1, s4, v5, s1
	v_cmp_ne_u32_e64 s1, 0, v15
	v_cvt_f64_f32_e32 v[3:4], v3
	v_lshrrev_b32_e32 v5, 2, v6
	v_lshrrev_b32_e32 v15, 8, v16
	s_or_b32 vcc_lo, s0, vcc_lo
	v_cndmask_b32_e64 v6, 0, 1, s1
	v_cmp_ne_u32_e64 s1, v8, v13
	v_add_nc_u32_e32 v13, 0xfffffc10, v17
	v_add_co_ci_u32_e32 v5, vcc_lo, 0, v5, vcc_lo
	v_and_or_b32 v15, 0xffe, v15, v6
	v_cndmask_b32_e64 v8, 0, 1, s1
	v_sub_nc_u32_e32 v6, 0x3f1, v20
	v_lshl_or_b32 v17, v13, 12, v9
	v_cmp_gt_i32_e32 vcc_lo, 1, v13
	v_mul_f16_sdwa v22, v91, v21 dst_sel:DWORD dst_unused:UNUSED_PAD src0_sel:WORD_1 src1_sel:DWORD
	v_or_b32_e32 v8, v18, v8
	v_or_b32_e32 v18, 0x1000, v15
	v_med3_i32 v6, v6, 0, 13
	v_cmp_eq_u32_e64 s1, 0x40f, v19
	v_fmac_f16_e32 v22, v91, v7
	v_cndmask_b32_e32 v8, v17, v8, vcc_lo
	v_cmp_ne_u32_e32 vcc_lo, 0, v11
	v_mul_f64 v[3:4], v[3:4], s[2:3]
	v_lshrrev_b32_e32 v17, v6, v18
	v_mul_f16_sdwa v7, v91, v7 dst_sel:DWORD dst_unused:UNUSED_PAD src0_sel:WORD_1 src1_sel:DWORD
	v_and_b32_e32 v23, 7, v8
	v_cndmask_b32_e64 v11, 0, 1, vcc_lo
	v_cmp_gt_i32_e32 vcc_lo, 31, v19
	v_lshlrev_b32_e32 v6, v6, v17
	v_lshrrev_b32_e32 v8, 2, v8
	v_cmp_eq_u32_e64 s0, 3, v23
	v_lshl_or_b32 v11, v11, 9, 0x7c00
	v_cndmask_b32_e32 v5, 0x7c00, v5, vcc_lo
	v_cmp_lt_i32_e32 vcc_lo, 5, v23
	v_add_nc_u32_e32 v19, 0xfffffc10, v20
	v_fma_f16 v7, v91, v21, -v7
	v_lshrrev_b32_e32 v16, 16, v16
	v_cndmask_b32_e64 v11, v5, v11, s1
	v_cmp_ne_u32_e64 s1, v6, v18
	v_cvt_f32_f16_e32 v5, v22
	s_or_b32 vcc_lo, s0, vcc_lo
	v_cvt_f32_f16_e32 v7, v7
	v_add_co_ci_u32_e32 v8, vcc_lo, 0, v8, vcc_lo
	v_cndmask_b32_e64 v18, 0, 1, s1
	v_cmp_ne_u32_e32 vcc_lo, 0, v9
	v_cvt_f64_f32_e32 v[5:6], v5
	v_and_or_b32 v3, 0x1ff, v4, v3
	v_bfe_u32 v20, v4, 20, 11
	v_or_b32_e32 v17, v17, v18
	v_lshl_or_b32 v18, v19, 12, v15
	v_cndmask_b32_e64 v9, 0, 1, vcc_lo
	v_cmp_gt_i32_e32 vcc_lo, 1, v19
	v_and_or_b32 v11, 0x8000, v12, v11
	v_lshl_or_b32 v9, v9, 9, 0x7c00
	v_cndmask_b32_e32 v17, v18, v17, vcc_lo
	v_cmp_ne_u32_e32 vcc_lo, 0, v3
	v_lshrrev_b32_e32 v18, 8, v4
	v_and_b32_e32 v11, 0xffff, v11
	v_and_b32_e32 v22, 7, v17
	v_cndmask_b32_e64 v3, 0, 1, vcc_lo
	v_cmp_gt_i32_e32 vcc_lo, 31, v13
	v_cmp_eq_u32_e64 s0, 3, v22
	v_and_or_b32 v3, 0xffe, v18, v3
	v_cndmask_b32_e32 v8, 0x7c00, v8, vcc_lo
	v_cmp_eq_u32_e32 vcc_lo, 0x40f, v13
	v_sub_nc_u32_e32 v18, 0x3f1, v20
	v_mul_f64 v[5:6], v[5:6], s[2:3]
	v_cndmask_b32_e32 v8, v8, v9, vcc_lo
	v_or_b32_e32 v9, 0x1000, v3
	v_med3_i32 v13, v18, 0, 13
	v_cmp_lt_i32_e32 vcc_lo, 5, v22
	v_add_nc_u32_e32 v18, 0xfffffc10, v20
	v_and_or_b32 v8, 0x8000, v14, v8
	v_lshrrev_b32_e32 v14, 2, v17
	v_lshrrev_b32_e32 v12, v13, v9
	s_or_b32 vcc_lo, s0, vcc_lo
	v_lshl_or_b32 v17, v8, 16, v11
	v_add_co_ci_u32_e32 v14, vcc_lo, 0, v14, vcc_lo
	v_lshlrev_b32_e32 v13, v13, v12
	v_cmp_ne_u32_e32 vcc_lo, 0, v15
	v_cvt_f64_f32_e32 v[7:8], v7
	v_cndmask_b32_e64 v15, 0, 1, vcc_lo
	v_cmp_ne_u32_e32 vcc_lo, v13, v9
	v_and_or_b32 v5, 0x1ff, v6, v5
	v_bfe_u32 v20, v6, 20, 11
	v_lshrrev_b32_e32 v13, 16, v10
	v_cndmask_b32_e64 v9, 0, 1, vcc_lo
	v_cmp_gt_i32_e32 vcc_lo, 31, v19
	v_mul_f16_sdwa v21, v90, v13 dst_sel:DWORD dst_unused:UNUSED_PAD src0_sel:WORD_1 src1_sel:DWORD
	v_or_b32_e32 v9, v12, v9
	v_cndmask_b32_e32 v11, 0x7c00, v14, vcc_lo
	v_cmp_ne_u32_e32 vcc_lo, 0, v5
	v_lshrrev_b32_e32 v14, 8, v6
	v_lshl_or_b32 v12, v18, 12, v3
	v_fmac_f16_e32 v21, v90, v10
	v_mul_f16_sdwa v10, v90, v10 dst_sel:DWORD dst_unused:UNUSED_PAD src0_sel:WORD_1 src1_sel:DWORD
	v_cndmask_b32_e64 v5, 0, 1, vcc_lo
	v_cmp_gt_i32_e32 vcc_lo, 1, v18
	v_mul_f64 v[7:8], v[7:8], s[2:3]
	v_cvt_f32_f16_e32 v21, v21
	v_fma_f16 v10, v90, v13, -v10
	v_and_or_b32 v5, 0xffe, v14, v5
	v_sub_nc_u32_e32 v14, 0x3f1, v20
	v_cndmask_b32_e32 v9, v12, v9, vcc_lo
	v_lshl_or_b32 v12, v15, 9, 0x7c00
	v_cmp_eq_u32_e32 vcc_lo, 0x40f, v19
	v_or_b32_e32 v15, 0x1000, v5
	v_med3_i32 v14, v14, 0, 13
	v_and_b32_e32 v22, 7, v9
	v_lshrrev_b32_e32 v9, 2, v9
	v_cndmask_b32_e32 v19, v11, v12, vcc_lo
	v_cvt_f64_f32_e32 v[11:12], v21
	v_lshrrev_b32_e32 v23, v14, v15
	v_cmp_lt_i32_e32 vcc_lo, 5, v22
	v_cmp_eq_u32_e64 s0, 3, v22
	v_cvt_f32_f16_e32 v10, v10
	v_and_or_b32 v16, 0x8000, v16, v19
	v_lshlrev_b32_e32 v14, v14, v23
	v_lshrrev_b32_e32 v6, 16, v6
	s_or_b32 vcc_lo, s0, vcc_lo
	v_and_or_b32 v7, 0x1ff, v8, v7
	v_add_co_ci_u32_e32 v13, vcc_lo, 0, v9, vcc_lo
	v_cmp_ne_u32_e32 vcc_lo, v14, v15
	v_add_nc_u32_e32 v15, 0xfffffc10, v20
	v_and_b32_e32 v16, 0xffff, v16
	v_cndmask_b32_e64 v9, 0, 1, vcc_lo
	v_cmp_ne_u32_e32 vcc_lo, 0, v3
	v_lshl_or_b32 v21, v15, 12, v5
	v_or_b32_e32 v20, v23, v9
	v_cndmask_b32_e64 v3, 0, 1, vcc_lo
	v_cmp_gt_i32_e32 vcc_lo, 31, v18
	v_cvt_f64_f32_e32 v[9:10], v10
	v_mul_f64 v[11:12], v[11:12], s[2:3]
	v_lshl_or_b32 v3, v3, 9, 0x7c00
	v_cndmask_b32_e32 v22, 0x7c00, v13, vcc_lo
	v_add_co_u32 v13, vcc_lo, v0, s5
	v_add_co_ci_u32_e32 v14, vcc_lo, s4, v1, vcc_lo
	v_cmp_gt_i32_e32 vcc_lo, 1, v15
	v_cndmask_b32_e32 v20, v21, v20, vcc_lo
	v_cmp_eq_u32_e32 vcc_lo, 0x40f, v18
	v_bfe_u32 v21, v8, 20, 11
	v_and_b32_e32 v23, 7, v20
	v_cndmask_b32_e32 v18, v22, v3, vcc_lo
	v_cmp_ne_u32_e32 vcc_lo, 0, v7
	v_lshrrev_b32_e32 v7, 8, v8
	v_lshrrev_b32_e32 v22, 16, v4
	v_sub_nc_u32_e32 v19, 0x3f1, v21
	v_cmp_eq_u32_e64 s0, 3, v23
	v_cndmask_b32_e64 v3, 0, 1, vcc_lo
	v_cmp_lt_i32_e32 vcc_lo, 5, v23
	v_and_or_b32 v11, 0x1ff, v12, v11
	v_bfe_u32 v23, v12, 20, 11
	v_lshrrev_b32_e32 v8, 16, v8
	v_and_or_b32 v7, 0xffe, v7, v3
	v_mul_f64 v[3:4], v[9:10], s[2:3]
	v_and_or_b32 v9, 0x8000, v22, v18
	v_med3_i32 v18, v19, 0, 13
	v_lshrrev_b32_e32 v19, 2, v20
	v_or_b32_e32 v10, 0x1000, v7
	s_or_b32 vcc_lo, s0, vcc_lo
	v_lshrrev_b32_e32 v22, 8, v12
	v_lshl_or_b32 v9, v9, 16, v16
	v_add_co_ci_u32_e32 v19, vcc_lo, 0, v19, vcc_lo
	v_lshrrev_b32_e32 v20, v18, v10
	v_cmp_ne_u32_e32 vcc_lo, 0, v11
	v_lshlrev_b32_e32 v18, v18, v20
	v_cndmask_b32_e64 v11, 0, 1, vcc_lo
	v_cmp_ne_u32_e32 vcc_lo, 0, v5
	v_and_or_b32 v11, 0xffe, v22, v11
	v_cndmask_b32_e64 v5, 0, 1, vcc_lo
	v_cmp_ne_u32_e32 vcc_lo, v18, v10
	v_sub_nc_u32_e32 v22, 0x3f1, v23
	v_and_or_b32 v3, 0x1ff, v4, v3
	v_add_nc_u32_e32 v18, 0xfffffc10, v21
	v_or_b32_e32 v21, 0x1000, v11
	v_cndmask_b32_e64 v10, 0, 1, vcc_lo
	v_cmp_gt_i32_e32 vcc_lo, 31, v15
	v_med3_i32 v22, v22, 0, 13
	v_lshrrev_b32_e32 v24, 8, v4
	v_bfe_u32 v25, v4, 20, 11
	v_or_b32_e32 v10, v20, v10
	v_cndmask_b32_e32 v19, 0x7c00, v19, vcc_lo
	v_cmp_ne_u32_e32 vcc_lo, 0, v3
	v_lshl_or_b32 v20, v18, 12, v7
	v_lshrrev_b32_e32 v26, v22, v21
	v_lshl_or_b32 v5, v5, 9, 0x7c00
	v_cndmask_b32_e64 v3, 0, 1, vcc_lo
	v_cmp_gt_i32_e32 vcc_lo, 1, v18
	v_and_or_b32 v3, 0xffe, v24, v3
	v_sub_nc_u32_e32 v24, 0x3f1, v25
	v_cndmask_b32_e32 v10, v20, v10, vcc_lo
	v_lshlrev_b32_e32 v20, v22, v26
	v_cmp_eq_u32_e32 vcc_lo, 0x40f, v15
	v_or_b32_e32 v22, 0x1000, v3
	v_med3_i32 v24, v24, 0, 13
	v_and_b32_e32 v27, 7, v10
	v_lshrrev_b32_e32 v10, 2, v10
	v_cndmask_b32_e32 v5, v19, v5, vcc_lo
	v_cmp_ne_u32_e32 vcc_lo, v20, v21
	v_add_nc_u32_e32 v19, 0xfffffc10, v23
	v_lshrrev_b32_e32 v20, v24, v22
	v_cmp_eq_u32_e64 s0, 3, v27
	v_and_or_b32 v5, 0x8000, v6, v5
	v_cndmask_b32_e64 v15, 0, 1, vcc_lo
	v_lshl_or_b32 v21, v19, 12, v11
	v_lshlrev_b32_e32 v23, v24, v20
	v_cmp_gt_i32_e64 s1, 1, v19
	v_cmp_lt_i32_e32 vcc_lo, 5, v27
	v_or_b32_e32 v15, v26, v15
	v_and_b32_e32 v5, 0xffff, v5
	s_or_b32 vcc_lo, s0, vcc_lo
	v_cndmask_b32_e64 v15, v21, v15, s1
	v_cmp_ne_u32_e64 s1, v23, v22
	v_add_nc_u32_e32 v22, 0xfffffc10, v25
	v_add_co_ci_u32_e32 v10, vcc_lo, 0, v10, vcc_lo
	v_and_b32_e32 v23, 7, v15
	v_cndmask_b32_e64 v21, 0, 1, s1
	v_cmp_ne_u32_e32 vcc_lo, 0, v7
	v_cmp_gt_i32_e64 s0, 1, v22
	v_lshrrev_b32_e32 v15, 2, v15
	v_cmp_gt_i32_e64 s1, 31, v18
	v_or_b32_e32 v20, v20, v21
	v_lshl_or_b32 v21, v22, 12, v3
	v_cndmask_b32_e64 v7, 0, 1, vcc_lo
	v_cmp_lt_i32_e32 vcc_lo, 5, v23
	v_cndmask_b32_e64 v10, 0x7c00, v10, s1
	v_cmp_eq_u32_e64 s1, 0x40f, v18
	v_cndmask_b32_e64 v6, v21, v20, s0
	v_cmp_eq_u32_e64 s0, 3, v23
	v_lshl_or_b32 v7, v7, 9, 0x7c00
	v_and_b32_e32 v20, 7, v6
	s_or_b32 vcc_lo, s0, vcc_lo
	v_lshrrev_b32_e32 v6, 2, v6
	v_add_co_ci_u32_e32 v15, vcc_lo, 0, v15, vcc_lo
	v_cmp_ne_u32_e32 vcc_lo, 0, v11
	v_cmp_eq_u32_e64 s0, 3, v20
	v_cndmask_b32_e64 v7, v10, v7, s1
	v_cmp_gt_i32_e64 s1, 31, v19
	v_cndmask_b32_e64 v11, 0, 1, vcc_lo
	v_cmp_lt_i32_e32 vcc_lo, 5, v20
	v_and_or_b32 v7, 0x8000, v8, v7
	v_cndmask_b32_e64 v10, 0x7c00, v15, s1
	v_lshl_or_b32 v11, v11, 9, 0x7c00
	s_or_b32 vcc_lo, s0, vcc_lo
	v_add_co_ci_u32_e32 v6, vcc_lo, 0, v6, vcc_lo
	v_cmp_ne_u32_e32 vcc_lo, 0, v3
	v_cndmask_b32_e64 v3, 0, 1, vcc_lo
	v_cmp_eq_u32_e32 vcc_lo, 0x40f, v19
	v_lshl_or_b32 v3, v3, 9, 0x7c00
	v_cndmask_b32_e32 v10, v10, v11, vcc_lo
	v_cmp_gt_i32_e32 vcc_lo, 31, v22
	v_lshrrev_b32_e32 v11, 16, v12
	v_cndmask_b32_e32 v6, 0x7c00, v6, vcc_lo
	v_cmp_eq_u32_e32 vcc_lo, 0x40f, v22
	v_and_or_b32 v8, 0x8000, v11, v10
	v_lshrrev_b32_e32 v10, 16, v4
	v_lshl_or_b32 v11, v7, 16, v5
	v_cndmask_b32_e32 v6, v6, v3, vcc_lo
	v_add_co_u32 v3, vcc_lo, v13, s5
	v_add_co_ci_u32_e32 v4, vcc_lo, s4, v14, vcc_lo
	v_and_or_b32 v7, 0x8000, v10, v6
	v_and_b32_e32 v8, 0xffff, v8
	v_add_co_u32 v5, vcc_lo, v3, s5
	v_add_co_ci_u32_e32 v6, vcc_lo, s4, v4, vcc_lo
	v_lshl_or_b32 v10, v7, 16, v8
	v_add_co_u32 v7, vcc_lo, v5, s5
	v_add_co_ci_u32_e32 v8, vcc_lo, s4, v6, vcc_lo
	global_store_dword v[0:1], v2, off
	global_store_dword v[13:14], v17, off
	;; [unrolled: 1-line block ×5, first 2 shown]
.LBB0_2:
	s_endpgm
	.section	.rodata,"a",@progbits
	.p2align	6, 0x0
	.amdhsa_kernel bluestein_single_fwd_len5488_dim1_half_op_CI_CI
		.amdhsa_group_segment_fixed_size 21952
		.amdhsa_private_segment_fixed_size 0
		.amdhsa_kernarg_size 104
		.amdhsa_user_sgpr_count 6
		.amdhsa_user_sgpr_private_segment_buffer 1
		.amdhsa_user_sgpr_dispatch_ptr 0
		.amdhsa_user_sgpr_queue_ptr 0
		.amdhsa_user_sgpr_kernarg_segment_ptr 1
		.amdhsa_user_sgpr_dispatch_id 0
		.amdhsa_user_sgpr_flat_scratch_init 0
		.amdhsa_user_sgpr_private_segment_size 0
		.amdhsa_wavefront_size32 1
		.amdhsa_uses_dynamic_stack 0
		.amdhsa_system_sgpr_private_segment_wavefront_offset 0
		.amdhsa_system_sgpr_workgroup_id_x 1
		.amdhsa_system_sgpr_workgroup_id_y 0
		.amdhsa_system_sgpr_workgroup_id_z 0
		.amdhsa_system_sgpr_workgroup_info 0
		.amdhsa_system_vgpr_workitem_id 0
		.amdhsa_next_free_vgpr 228
		.amdhsa_next_free_sgpr 20
		.amdhsa_reserve_vcc 1
		.amdhsa_reserve_flat_scratch 0
		.amdhsa_float_round_mode_32 0
		.amdhsa_float_round_mode_16_64 0
		.amdhsa_float_denorm_mode_32 3
		.amdhsa_float_denorm_mode_16_64 3
		.amdhsa_dx10_clamp 1
		.amdhsa_ieee_mode 1
		.amdhsa_fp16_overflow 0
		.amdhsa_workgroup_processor_mode 1
		.amdhsa_memory_ordered 1
		.amdhsa_forward_progress 0
		.amdhsa_shared_vgpr_count 0
		.amdhsa_exception_fp_ieee_invalid_op 0
		.amdhsa_exception_fp_denorm_src 0
		.amdhsa_exception_fp_ieee_div_zero 0
		.amdhsa_exception_fp_ieee_overflow 0
		.amdhsa_exception_fp_ieee_underflow 0
		.amdhsa_exception_fp_ieee_inexact 0
		.amdhsa_exception_int_div_zero 0
	.end_amdhsa_kernel
	.text
.Lfunc_end0:
	.size	bluestein_single_fwd_len5488_dim1_half_op_CI_CI, .Lfunc_end0-bluestein_single_fwd_len5488_dim1_half_op_CI_CI
                                        ; -- End function
	.section	.AMDGPU.csdata,"",@progbits
; Kernel info:
; codeLenInByte = 47208
; NumSgprs: 22
; NumVgprs: 228
; ScratchSize: 0
; MemoryBound: 0
; FloatMode: 240
; IeeeMode: 1
; LDSByteSize: 21952 bytes/workgroup (compile time only)
; SGPRBlocks: 2
; VGPRBlocks: 28
; NumSGPRsForWavesPerEU: 22
; NumVGPRsForWavesPerEU: 228
; Occupancy: 4
; WaveLimiterHint : 1
; COMPUTE_PGM_RSRC2:SCRATCH_EN: 0
; COMPUTE_PGM_RSRC2:USER_SGPR: 6
; COMPUTE_PGM_RSRC2:TRAP_HANDLER: 0
; COMPUTE_PGM_RSRC2:TGID_X_EN: 1
; COMPUTE_PGM_RSRC2:TGID_Y_EN: 0
; COMPUTE_PGM_RSRC2:TGID_Z_EN: 0
; COMPUTE_PGM_RSRC2:TIDIG_COMP_CNT: 0
	.text
	.p2alignl 6, 3214868480
	.fill 48, 4, 3214868480
	.type	__hip_cuid_f5da06788dc0e691,@object ; @__hip_cuid_f5da06788dc0e691
	.section	.bss,"aw",@nobits
	.globl	__hip_cuid_f5da06788dc0e691
__hip_cuid_f5da06788dc0e691:
	.byte	0                               ; 0x0
	.size	__hip_cuid_f5da06788dc0e691, 1

	.ident	"AMD clang version 19.0.0git (https://github.com/RadeonOpenCompute/llvm-project roc-6.4.0 25133 c7fe45cf4b819c5991fe208aaa96edf142730f1d)"
	.section	".note.GNU-stack","",@progbits
	.addrsig
	.addrsig_sym __hip_cuid_f5da06788dc0e691
	.amdgpu_metadata
---
amdhsa.kernels:
  - .args:
      - .actual_access:  read_only
        .address_space:  global
        .offset:         0
        .size:           8
        .value_kind:     global_buffer
      - .actual_access:  read_only
        .address_space:  global
        .offset:         8
        .size:           8
        .value_kind:     global_buffer
      - .actual_access:  read_only
        .address_space:  global
        .offset:         16
        .size:           8
        .value_kind:     global_buffer
      - .actual_access:  read_only
        .address_space:  global
        .offset:         24
        .size:           8
        .value_kind:     global_buffer
      - .actual_access:  read_only
        .address_space:  global
        .offset:         32
        .size:           8
        .value_kind:     global_buffer
      - .offset:         40
        .size:           8
        .value_kind:     by_value
      - .address_space:  global
        .offset:         48
        .size:           8
        .value_kind:     global_buffer
      - .address_space:  global
        .offset:         56
        .size:           8
        .value_kind:     global_buffer
      - .address_space:  global
        .offset:         64
        .size:           8
        .value_kind:     global_buffer
      - .address_space:  global
        .offset:         72
        .size:           8
        .value_kind:     global_buffer
      - .offset:         80
        .size:           4
        .value_kind:     by_value
      - .address_space:  global
        .offset:         88
        .size:           8
        .value_kind:     global_buffer
      - .address_space:  global
        .offset:         96
        .size:           8
        .value_kind:     global_buffer
    .group_segment_fixed_size: 21952
    .kernarg_segment_align: 8
    .kernarg_segment_size: 104
    .language:       OpenCL C
    .language_version:
      - 2
      - 0
    .max_flat_workgroup_size: 196
    .name:           bluestein_single_fwd_len5488_dim1_half_op_CI_CI
    .private_segment_fixed_size: 0
    .sgpr_count:     22
    .sgpr_spill_count: 0
    .symbol:         bluestein_single_fwd_len5488_dim1_half_op_CI_CI.kd
    .uniform_work_group_size: 1
    .uses_dynamic_stack: false
    .vgpr_count:     228
    .vgpr_spill_count: 0
    .wavefront_size: 32
    .workgroup_processor_mode: 1
amdhsa.target:   amdgcn-amd-amdhsa--gfx1030
amdhsa.version:
  - 1
  - 2
...

	.end_amdgpu_metadata
